;; amdgpu-corpus repo=ROCm/rccl kind=compiled arch=gfx1100 opt=O3
	.text
	.amdgcn_target "amdgcn-amd-amdhsa--gfx1100"
	.amdhsa_code_object_version 6
	.p2align	2                               ; -- Begin function _ZN12_GLOBAL__N_17runRingIm10FuncMinMaxImE7ProtoLLLi0ELi1ELi0EEEviiP15ncclDevWorkColl
	.type	_ZN12_GLOBAL__N_17runRingIm10FuncMinMaxImE7ProtoLLLi0ELi1ELi0EEEviiP15ncclDevWorkColl,@function
_ZN12_GLOBAL__N_17runRingIm10FuncMinMaxImE7ProtoLLLi0ELi1ELi0EEEviiP15ncclDevWorkColl: ; @_ZN12_GLOBAL__N_17runRingIm10FuncMinMaxImE7ProtoLLLi0ELi1ELi0EEEviiP15ncclDevWorkColl
; %bb.0:
	s_waitcnt vmcnt(0) expcnt(0) lgkmcnt(0)
	s_cbranch_execnz .LBB0_15
; %bb.1:
	v_mov_b32_e32 v4, v0
	s_clause 0x2
	flat_load_b32 v0, v[2:3]
	flat_load_b128 v[5:8], v[2:3] offset:72
	flat_load_b64 v[19:20], v[2:3] offset:88
	s_mov_b32 s0, exec_lo
                                        ; implicit-def: $vgpr17_vgpr18
                                        ; implicit-def: $vgpr25_vgpr26
	s_waitcnt vmcnt(2) lgkmcnt(2)
	v_and_b32_e32 v11, 0xff, v0
	v_bfe_u32 v10, v0, 8, 8
	s_delay_alu instid0(VALU_DEP_2) | instskip(SKIP_3) | instid1(VALU_DEP_1)
	v_not_b32_e32 v0, v11
	ds_load_b32 v9, v0
	ds_load_b64 v[23:24], v0
	v_add_nc_u32_e32 v12, v10, v0
	v_ashrrev_i32_e32 v13, 31, v12
	s_waitcnt vmcnt(1) lgkmcnt(3)
	v_mul_lo_u32 v14, v8, v12
	v_mad_u64_u32 v[64:65], null, v7, v12, 0
	s_delay_alu instid0(VALU_DEP_3) | instskip(NEXT) | instid1(VALU_DEP_1)
	v_mul_lo_u32 v12, v7, v13
	v_add3_u32 v69, v65, v12, v14
	s_waitcnt lgkmcnt(1)
	v_readfirstlane_b32 s10, v9
	v_cmpx_ne_u32_e64 v11, v9
	s_xor_b32 s0, exec_lo, s0
	s_cbranch_execz .LBB0_7
; %bb.2:
	s_mov_b32 s1, exec_lo
                                        ; implicit-def: $vgpr17_vgpr18
                                        ; implicit-def: $vgpr25_vgpr26
	v_cmpx_ne_u32_e64 v10, v9
	s_xor_b32 s1, exec_lo, s1
	s_cbranch_execz .LBB0_4
; %bb.3:
	flat_load_b64 v[10:11], v[2:3] offset:96
	v_add_nc_u32_e32 v0, v9, v0
	s_delay_alu instid0(VALU_DEP_1) | instskip(SKIP_2) | instid1(VALU_DEP_3)
	v_ashrrev_i32_e32 v9, 31, v0
	v_mul_lo_u32 v12, v8, v0
	v_mad_u64_u32 v[25:26], null, v7, v0, v[5:6]
	v_mul_lo_u32 v9, v7, v9
	s_delay_alu instid0(VALU_DEP_1)
	v_add3_u32 v26, v12, v26, v9
	s_waitcnt vmcnt(0) lgkmcnt(0)
	v_lshrrev_b64 v[17:18], 20, v[10:11]
.LBB0_4:
	s_and_not1_saveexec_b32 s1, s1
	s_cbranch_execz .LBB0_6
; %bb.5:
	flat_load_b32 v0, v[2:3] offset:100
	v_add_co_u32 v25, vcc_lo, v64, v5
	v_add_co_ci_u32_e32 v26, vcc_lo, v69, v6, vcc_lo
	s_waitcnt vmcnt(1)
	v_dual_mov_b32 v7, v19 :: v_dual_mov_b32 v8, v20
	s_waitcnt vmcnt(0) lgkmcnt(0)
	v_lshrrev_b32_e32 v17, 9, v0
.LBB0_6:
	s_or_b32 exec_lo, exec_lo, s1
.LBB0_7:
	s_and_not1_saveexec_b32 s0, s0
	s_cbranch_execz .LBB0_9
; %bb.8:
	flat_load_b64 v[7:8], v[2:3] offset:96
	v_mov_b32_e32 v25, 0
	v_mov_b32_e32 v26, 0
	s_waitcnt vmcnt(0) lgkmcnt(0)
	v_lshlrev_b64 v[17:18], 1, v[7:8]
	v_dual_mov_b32 v8, v6 :: v_dual_mov_b32 v7, v5
.LBB0_9:
	s_or_b32 exec_lo, exec_lo, s0
	s_load_b32 s0, s[8:9], 0x0
	v_mov_b32_e32 v0, 0
	flat_load_b64 v[27:28], v[2:3] offset:104
	s_mov_b32 s2, 0
	s_waitcnt lgkmcnt(0)
	s_cmp_lt_u32 s12, s0
	s_cselect_b32 s0, 12, 18
	s_delay_alu instid0(SALU_CYCLE_1)
	s_add_u32 s0, s8, s0
	s_addc_u32 s1, s9, 0
	s_clause 0x2
	flat_load_b128 v[9:12], v[2:3] offset:16
	flat_load_u16 v14, v[2:3] offset:8
	flat_load_b32 v13, v[2:3] offset:4
	global_load_u16 v0, v0, s[0:1]
	s_cbranch_execnz .LBB0_17
; %bb.10:
	s_waitcnt vmcnt(0)
	ds_load_b32 v2, v0
	s_waitcnt lgkmcnt(1)
	v_lshrrev_b64 v[13:14], 31, v[13:14]
	s_delay_alu instid0(VALU_DEP_1)
	v_and_b32_e32 v14, 3, v13
	v_and_b32_e32 v13, 31, v4
	s_waitcnt lgkmcnt(0)
	v_cmp_gt_i32_e32 vcc_lo, 0, v2
	v_readfirstlane_b32 s1, v2
	s_cbranch_vccnz .LBB0_19
; %bb.11:
	v_cmp_eq_u32_e32 vcc_lo, 0, v13
	s_cbranch_execnz .LBB0_23
; %bb.12:
	ds_load_b64 v[15:16], v0
	v_dual_mov_b32 v3, 0 :: v_dual_and_b32 v18, 0xffff, v14
	s_mov_b32 s2, 1
	s_delay_alu instid0(VALU_DEP_1) | instskip(SKIP_1) | instid1(VALU_DEP_1)
	v_lshlrev_b64 v[2:3], 3, v[2:3]
	s_waitcnt lgkmcnt(0)
	v_add_co_u32 v2, s0, v15, v2
	s_delay_alu instid0(VALU_DEP_1)
	v_add_co_ci_u32_e64 v3, s0, v16, v3, s0
	flat_load_b64 v[2:3], v[2:3]
	s_waitcnt vmcnt(0) lgkmcnt(0)
	v_mad_u64_u32 v[15:16], null, 0xa8, v18, v[2:3]
	s_clause 0x1
	flat_load_b64 v[32:33], v[15:16] offset:504
	flat_load_b64 v[34:35], v[15:16] offset:608
	v_add_co_u32 v2, s0, 0x1f8, v15
	s_delay_alu instid0(VALU_DEP_1) | instskip(NEXT) | instid1(VALU_DEP_1)
	v_add_co_ci_u32_e64 v3, s0, 0, v16, s0
	v_dual_cndmask_b32 v29, 0, v2 :: v_dual_cndmask_b32 v30, 0, v3
	s_cbranch_execz .LBB0_20
.LBB0_13:
	s_trap 2
	s_sendmsg_rtn_b32 s0, sendmsg(MSG_RTN_GET_DOORBELL)
	s_mov_b32 ttmp2, m0
	s_waitcnt lgkmcnt(0)
	s_and_b32 s0, s0, 0x3ff
	s_delay_alu instid0(SALU_CYCLE_1) | instskip(NEXT) | instid1(SALU_CYCLE_1)
	s_bitset1_b32 s0, 10
	s_mov_b32 m0, s0
	s_sendmsg sendmsg(MSG_INTERRUPT)
	s_mov_b32 m0, ttmp2
.LBB0_14:                               ; =>This Inner Loop Header: Depth=1
	s_sethalt 5
	s_branch .LBB0_14
.LBB0_15:
	s_trap 2
	s_sendmsg_rtn_b32 s0, sendmsg(MSG_RTN_GET_DOORBELL)
	s_mov_b32 ttmp2, m0
	s_waitcnt lgkmcnt(0)
	s_and_b32 s0, s0, 0x3ff
	s_delay_alu instid0(SALU_CYCLE_1) | instskip(NEXT) | instid1(SALU_CYCLE_1)
	s_bitset1_b32 s0, 10
	s_mov_b32 m0, s0
	s_sendmsg sendmsg(MSG_INTERRUPT)
	s_mov_b32 m0, ttmp2
.LBB0_16:                               ; =>This Inner Loop Header: Depth=1
	s_sethalt 5
	s_branch .LBB0_16
.LBB0_17:
	s_trap 2
	s_sendmsg_rtn_b32 s0, sendmsg(MSG_RTN_GET_DOORBELL)
	s_mov_b32 ttmp2, m0
	s_waitcnt lgkmcnt(0)
	s_and_b32 s0, s0, 0x3ff
	s_delay_alu instid0(SALU_CYCLE_1) | instskip(NEXT) | instid1(SALU_CYCLE_1)
	s_bitset1_b32 s0, 10
	s_mov_b32 m0, s0
	s_sendmsg sendmsg(MSG_INTERRUPT)
	s_mov_b32 m0, ttmp2
.LBB0_18:                               ; =>This Inner Loop Header: Depth=1
	s_sethalt 5
	s_branch .LBB0_18
.LBB0_19:
	v_mov_b32_e32 v29, 0
	v_mov_b32_e32 v30, 0
                                        ; implicit-def: $vgpr34_vgpr35
                                        ; implicit-def: $vgpr32_vgpr33
	s_cbranch_execnz .LBB0_13
.LBB0_20:
	ds_load_b32 v2, v0
	v_mov_b32_e32 v38, 0
	v_mov_b32_e32 v39, 0
	s_waitcnt lgkmcnt(0)
	v_cmp_gt_i32_e32 vcc_lo, 0, v2
	s_cbranch_vccnz .LBB0_25
; %bb.21:
	s_cbranch_execnz .LBB0_227
; %bb.22:
	ds_load_b64 v[15:16], v0
	v_mov_b32_e32 v3, 0
	s_delay_alu instid0(VALU_DEP_1) | instskip(SKIP_1) | instid1(VALU_DEP_1)
	v_lshlrev_b64 v[2:3], 3, v[2:3]
	s_waitcnt lgkmcnt(0)
	v_add_co_u32 v2, vcc_lo, v15, v2
	s_delay_alu instid0(VALU_DEP_2)
	v_add_co_ci_u32_e32 v3, vcc_lo, v16, v3, vcc_lo
	v_and_b32_e32 v16, 0xffff, v14
	v_cmp_eq_u32_e32 vcc_lo, 0, v13
	flat_load_b64 v[2:3], v[2:3]
	s_waitcnt vmcnt(0) lgkmcnt(0)
	v_mad_u64_u32 v[14:15], null, 0xa8, v16, v[2:3]
	s_clause 0x1
	flat_load_b64 v[48:49], v[14:15]
	flat_load_b64 v[21:22], v[14:15] offset:104
	v_dual_cndmask_b32 v37, 0, v15 :: v_dual_cndmask_b32 v36, 0, v14
	s_branch .LBB0_26
.LBB0_23:
	s_trap 2
	s_sendmsg_rtn_b32 s0, sendmsg(MSG_RTN_GET_DOORBELL)
	s_mov_b32 ttmp2, m0
	s_waitcnt lgkmcnt(0)
	s_and_b32 s0, s0, 0x3ff
	s_delay_alu instid0(SALU_CYCLE_1) | instskip(NEXT) | instid1(SALU_CYCLE_1)
	s_bitset1_b32 s0, 10
	s_mov_b32 m0, s0
	s_sendmsg sendmsg(MSG_INTERRUPT)
	s_mov_b32 m0, ttmp2
.LBB0_24:                               ; =>This Inner Loop Header: Depth=1
	s_sethalt 5
	s_branch .LBB0_24
.LBB0_25:
	s_delay_alu instid0(VALU_DEP_2)
	v_dual_mov_b32 v36, v38 :: v_dual_mov_b32 v37, v39
                                        ; implicit-def: $vgpr21_vgpr22
                                        ; implicit-def: $vgpr48_vgpr49
.LBB0_26:
	v_subrev_nc_u32_e32 v2, 32, v1
	v_cmp_gt_u32_e64 s0, s2, v13
                                        ; implicit-def: $vgpr50_vgpr51
	s_delay_alu instid0(VALU_DEP_2) | instskip(NEXT) | instid1(VALU_DEP_2)
	v_cmp_le_i32_e32 vcc_lo, v2, v4
	s_and_b32 s12, vcc_lo, s0
	s_delay_alu instid0(SALU_CYCLE_1)
	s_and_saveexec_b32 s0, s12
; %bb.27:
	s_clause 0x1
	flat_load_b64 v[38:39], v[29:30] offset:56
	flat_load_b64 v[50:51], v[29:30] offset:104
; %bb.28:
	s_or_b32 exec_lo, exec_lo, s0
	v_mov_b32_e32 v2, 0
	v_mov_b32_e32 v3, 0
	v_cmp_gt_i32_e64 s0, s2, v4
                                        ; implicit-def: $vgpr54_vgpr55
	s_delay_alu instid0(VALU_DEP_2) | instskip(SKIP_1) | instid1(VALU_DEP_3)
	v_dual_mov_b32 v14, v3 :: v_dual_mov_b32 v13, v2
	v_dual_mov_b32 v53, v3 :: v_dual_mov_b32 v52, v2
	s_and_saveexec_b32 s2, s0
	s_cbranch_execz .LBB0_30
; %bb.29:
	flat_load_b64 v[52:53], v[36:37] offset:56
	s_waitcnt vmcnt(0) lgkmcnt(0)
	flat_load_b64 v[54:55], v[52:53] glc dlc
	s_waitcnt vmcnt(0)
	flat_load_b128 v[13:16], v[36:37] offset:96
.LBB0_30:
	s_or_b32 exec_lo, exec_lo, s2
	v_and_b32_e32 v0, 0xffff, v0
	s_mov_b32 s13, exec_lo
	v_cmpx_ne_u64_e32 0, v[7:8]
	s_cbranch_execz .LBB0_215
; %bb.31:
	v_add_co_u32 v2, vcc_lo, v19, v5
	s_ashr_i32 s2, s1, 31
	v_add_co_ci_u32_e32 v3, vcc_lo, v20, v6, vcc_lo
	s_lshr_b32 s2, s2, 29
	s_ashr_i32 s11, s10, 31
	v_add_co_u32 v68, vcc_lo, v2, v64
	s_add_i32 s1, s1, s2
	s_lshl_b64 s[2:3], s[10:11], 2
	v_add_co_ci_u32_e32 v69, vcc_lo, v3, v69, vcc_lo
	v_add_co_u32 v3, vcc_lo, v23, s2
	v_add_co_ci_u32_e32 v5, vcc_lo, s3, v24, vcc_lo
	v_ashrrev_i32_e32 v2, 31, v1
	s_delay_alu instid0(VALU_DEP_3) | instskip(NEXT) | instid1(VALU_DEP_3)
	v_add_co_u32 v70, vcc_lo, v3, -4
	v_add_co_ci_u32_e32 v71, vcc_lo, -1, v5, vcc_lo
	v_ashrrev_i32_e32 v5, 31, v4
	s_delay_alu instid0(VALU_DEP_4) | instskip(SKIP_2) | instid1(VALU_DEP_4)
	v_lshrrev_b32_e32 v6, 27, v2
	v_dual_mov_b32 v65, 0 :: v_dual_and_b32 v66, 0x3ffffe, v17
	v_and_b32_e32 v64, 7, v9
	v_lshlrev_b64 v[80:81], 3, v[4:5]
	s_delay_alu instid0(VALU_DEP_4)
	v_dual_mov_b32 v84, 0 :: v_dual_add_nc_u32 v3, v1, v6
	v_lshlrev_b64 v[18:19], 3, v[25:26]
	v_mov_b32_e32 v85, 0
	v_dual_mov_b32 v67, v65 :: v_dual_and_b32 v6, 31, v31
	v_add_co_u32 v128, vcc_lo, v11, v80
	v_add_co_ci_u32_e32 v129, vcc_lo, v12, v81, vcc_lo
	v_add_co_u32 v130, vcc_lo, v9, v80
	v_add_co_ci_u32_e32 v131, vcc_lo, v10, v81, vcc_lo
	v_cmp_eq_u64_e32 vcc_lo, 0, v[64:65]
	v_ashrrev_i32_e32 v118, 5, v3
	v_cmp_eq_u32_e64 s5, 0, v6
	s_ashr_i32 s14, s1, 7
	v_cmp_ne_u64_e64 s1, 0, v[52:53]
	s_waitcnt vmcnt(0) lgkmcnt(0)
	v_cmp_ne_u64_e64 s2, 0, v[13:14]
	v_cndmask_b32_e64 v132, 0, 1, vcc_lo
	v_add_co_u32 v3, vcc_lo, v18, v80
	v_add_co_ci_u32_e32 v6, vcc_lo, v19, v81, vcc_lo
	v_dual_mov_b32 v144, 1 :: v_dual_lshlrev_b32 v19, 3, v17
	v_lshlrev_b64 v[17:18], 4, v[4:5]
	s_delay_alu instid0(VALU_DEP_4) | instskip(NEXT) | instid1(VALU_DEP_4)
	v_add_co_u32 v9, vcc_lo, v11, v3
	v_add_co_ci_u32_e32 v10, vcc_lo, v12, v6, vcc_lo
	v_cmp_ne_u64_e64 s6, 0, v[38:39]
	s_delay_alu instid0(VALU_DEP_4)
	v_add_co_u32 v134, vcc_lo, v48, v17
	v_and_b32_e32 v133, 0x1fffff0, v19
	v_lshlrev_b64 v[5:6], 3, v[68:69]
	v_lshlrev_b64 v[82:83], 3, v[1:2]
	;; [unrolled: 1-line block ×3, first 2 shown]
	v_mov_b32_e32 v2, v84
	v_cmp_ne_u32_e64 s3, 32, v1
	v_cmp_ne_u32_e64 s4, v0, v1
	v_ashrrev_i32_e32 v119, 31, v118
	v_add_co_ci_u32_e32 v135, vcc_lo, v49, v18, vcc_lo
	v_mov_b32_e32 v145, 0
	v_mov_b32_e32 v3, v85
	s_cmp_gt_i32 s10, 2
	s_mov_b32 s11, 0
	s_cselect_b32 s15, -1, 0
.LBB0_32:                               ; =>This Loop Header: Depth=1
                                        ;     Child Loop BB0_39 Depth 2
                                        ;     Child Loop BB0_59 Depth 2
	;; [unrolled: 1-line block ×5, first 2 shown]
                                        ;       Child Loop BB0_88 Depth 3
                                        ;       Child Loop BB0_108 Depth 3
	;; [unrolled: 1-line block ×3, first 2 shown]
                                        ;         Child Loop BB0_130 Depth 4
                                        ;       Child Loop BB0_148 Depth 3
                                        ;       Child Loop BB0_165 Depth 3
                                        ;     Child Loop BB0_170 Depth 2
                                        ;       Child Loop BB0_174 Depth 3
                                        ;     Child Loop BB0_198 Depth 2
	s_waitcnt vmcnt(0) lgkmcnt(0)
	flat_load_b32 v19, v[70:71]
	v_sub_co_u32 v17, vcc_lo, v7, v84
	v_sub_co_ci_u32_e32 v18, vcc_lo, v8, v85, vcc_lo
	s_delay_alu instid0(VALU_DEP_1)
	v_cmp_lt_u64_e32 vcc_lo, v[66:67], v[17:18]
	v_cndmask_b32_e32 v146, v17, v66, vcc_lo
	s_and_saveexec_b32 s7, s1
	s_cbranch_execz .LBB0_50
; %bb.33:                               ;   in Loop: Header=BB0_32 Depth=1
	v_add_co_u32 v17, vcc_lo, v15, 1
	v_add_co_ci_u32_e32 v18, vcc_lo, 0, v16, vcc_lo
	v_add_co_u32 v96, vcc_lo, v54, 8
	v_add_co_ci_u32_e32 v97, vcc_lo, 0, v55, vcc_lo
	s_mov_b32 s8, exec_lo
	s_delay_alu instid0(VALU_DEP_1)
	v_cmpx_lt_u64_e64 v[96:97], v[17:18]
	s_cbranch_execz .LBB0_47
; %bb.34:                               ;   in Loop: Header=BB0_32 Depth=1
	s_sleep 1
	flat_load_b64 v[54:55], v[52:53] glc
	v_cmp_eq_u32_e32 vcc_lo, 0, v145
	s_and_saveexec_b32 s9, vcc_lo
	s_cbranch_execz .LBB0_46
; %bb.35:                               ;   in Loop: Header=BB0_32 Depth=1
	v_cndmask_b32_e64 v16, 0, 1, vcc_lo
	s_mov_b32 s16, 0
                                        ; implicit-def: $sgpr17
	s_branch .LBB0_39
.LBB0_36:                               ;   in Loop: Header=BB0_39 Depth=2
	s_or_b32 exec_lo, exec_lo, s20
	s_delay_alu instid0(SALU_CYCLE_1)
	s_or_not1_b32 s20, s21, exec_lo
.LBB0_37:                               ;   in Loop: Header=BB0_39 Depth=2
	s_or_b32 exec_lo, exec_lo, s19
	s_xor_b32 s19, s20, -1
	s_and_not1_b32 s17, s17, exec_lo
	s_and_b32 s19, s19, exec_lo
	s_delay_alu instid0(SALU_CYCLE_1)
	s_or_b32 s17, s17, s19
.LBB0_38:                               ;   in Loop: Header=BB0_39 Depth=2
	s_or_b32 exec_lo, exec_lo, s18
	s_delay_alu instid0(SALU_CYCLE_1) | instskip(NEXT) | instid1(SALU_CYCLE_1)
	s_and_b32 s18, exec_lo, s17
	s_or_b32 s16, s18, s16
	s_delay_alu instid0(SALU_CYCLE_1)
	s_and_not1_b32 exec_lo, exec_lo, s16
	s_cbranch_execz .LBB0_45
.LBB0_39:                               ;   Parent Loop BB0_32 Depth=1
                                        ; =>  This Inner Loop Header: Depth=2
	s_waitcnt vmcnt(0) lgkmcnt(0)
	v_add_co_u32 v96, vcc_lo, v54, 8
	v_add_co_ci_u32_e32 v97, vcc_lo, 0, v55, vcc_lo
	v_mov_b32_e32 v145, 0
	s_or_b32 s17, s17, exec_lo
	s_mov_b32 s18, exec_lo
	s_delay_alu instid0(VALU_DEP_2)
	v_cmpx_lt_u64_e64 v[96:97], v[17:18]
	s_cbranch_execz .LBB0_38
; %bb.40:                               ;   in Loop: Header=BB0_39 Depth=2
	s_sleep 1
	flat_load_b64 v[54:55], v[52:53] glc
	v_dual_mov_b32 v145, 0 :: v_dual_add_nc_u32 v16, 1, v16
	s_mov_b32 s20, -1
	s_mov_b32 s19, exec_lo
	s_delay_alu instid0(VALU_DEP_1)
	v_cmpx_eq_u32_e32 0x2710, v16
	s_cbranch_execz .LBB0_37
; %bb.41:                               ;   in Loop: Header=BB0_39 Depth=2
	s_cbranch_execnz .LBB0_233
; %bb.42:                               ;   in Loop: Header=BB0_39 Depth=2
	ds_load_b64 v[96:97], v0
	v_dual_mov_b32 v16, 0 :: v_dual_mov_b32 v145, 0
	s_mov_b32 s21, -1
	s_mov_b32 s20, exec_lo
	s_waitcnt vmcnt(0) lgkmcnt(0)
	s_waitcnt_vscnt null, 0x0
	flat_load_b32 v20, v[96:97] glc
	s_waitcnt vmcnt(0) lgkmcnt(0)
	buffer_gl1_inv
	buffer_gl0_inv
	v_cmpx_ne_u32_e32 0, v20
	s_cbranch_execz .LBB0_36
; %bb.43:                               ;   in Loop: Header=BB0_39 Depth=2
	ds_store_b32 v0, v20
	s_cbranch_execnz .LBB0_258
; %bb.44:                               ;   in Loop: Header=BB0_39 Depth=2
	v_mov_b32_e32 v145, 1
	s_xor_b32 s21, exec_lo, -1
	s_branch .LBB0_36
.LBB0_45:                               ;   in Loop: Header=BB0_32 Depth=1
	s_or_b32 exec_lo, exec_lo, s16
.LBB0_46:                               ;   in Loop: Header=BB0_32 Depth=1
	s_delay_alu instid0(SALU_CYCLE_1)
	s_or_b32 exec_lo, exec_lo, s9
.LBB0_47:                               ;   in Loop: Header=BB0_32 Depth=1
	s_delay_alu instid0(SALU_CYCLE_1)
	s_or_b32 exec_lo, exec_lo, s8
	s_and_saveexec_b32 s8, s2
	s_cbranch_execz .LBB0_49
; %bb.48:                               ;   in Loop: Header=BB0_32 Depth=1
	v_and_b32_e32 v64, 0x7ffffff8, v15
	v_and_b32_e32 v20, 7, v15
	s_delay_alu instid0(VALU_DEP_2) | instskip(NEXT) | instid1(VALU_DEP_2)
	v_cmp_eq_u64_e32 vcc_lo, 0x7ffffff8, v[64:65]
	v_mad_u64_u32 v[96:97], null, v20, 24, v[13:14]
	v_cndmask_b32_e64 v16, v146, s14, vcc_lo
	s_delay_alu instid0(VALU_DEP_1) | instskip(NEXT) | instid1(VALU_DEP_1)
	v_lshlrev_b32_e32 v15, 4, v16
	v_ashrrev_i32_e32 v16, 31, v15
	flat_store_b64 v[96:97], v[15:16] offset:8 dlc
	s_waitcnt_vscnt null, 0x0
.LBB0_49:                               ;   in Loop: Header=BB0_32 Depth=1
	s_or_b32 exec_lo, exec_lo, s8
	v_dual_mov_b32 v15, v17 :: v_dual_mov_b32 v16, v18
.LBB0_50:                               ;   in Loop: Header=BB0_32 Depth=1
	s_or_b32 exec_lo, exec_lo, s7
	s_and_saveexec_b32 s7, s3
	s_cbranch_execz .LBB0_72
; %bb.51:                               ;   in Loop: Header=BB0_32 Depth=1
	s_and_saveexec_b32 s8, s4
	s_delay_alu instid0(SALU_CYCLE_1)
	s_xor_b32 s8, exec_lo, s8
	s_cbranch_execz .LBB0_69
; %bb.52:                               ;   in Loop: Header=BB0_32 Depth=1
	s_and_saveexec_b32 s9, s5
	s_cbranch_execz .LBB0_68
; %bb.53:                               ;   in Loop: Header=BB0_32 Depth=1
	s_mov_b32 s17, exec_lo
	s_mov_b32 s16, exec_lo
	v_mbcnt_lo_u32_b32 v17, s17, 0
	s_waitcnt vmcnt(0) lgkmcnt(0)
	s_waitcnt_vscnt null, 0x0
	buffer_gl1_inv
	buffer_gl0_inv
	v_cmpx_eq_u32_e32 0, v17
	s_cbranch_execz .LBB0_55
; %bb.54:                               ;   in Loop: Header=BB0_32 Depth=1
	s_bcnt1_i32_b32 s17, s17
	s_delay_alu instid0(SALU_CYCLE_1)
	v_mov_b32_e32 v64, s17
	ds_add_u64 v0, v[64:65]
	s_cbranch_execnz .LBB0_252
.LBB0_55:                               ;   in Loop: Header=BB0_32 Depth=1
	s_or_b32 exec_lo, exec_lo, s16
	s_cbranch_execnz .LBB0_239
; %bb.56:                               ;   in Loop: Header=BB0_32 Depth=1
	ds_load_b64 v[17:18], v0
	v_add_co_u32 v2, vcc_lo, v2, v118
	v_add_co_ci_u32_e32 v3, vcc_lo, v3, v119, vcc_lo
	s_mov_b32 s16, exec_lo
	s_waitcnt lgkmcnt(0)
	s_delay_alu instid0(VALU_DEP_1)
	v_cmpx_lt_u64_e64 v[17:18], v[2:3]
	s_cbranch_execz .LBB0_67
; %bb.57:                               ;   in Loop: Header=BB0_32 Depth=1
	s_mov_b32 s17, 0
	s_mov_b32 s20, 0
                                        ; implicit-def: $sgpr18
                                        ; implicit-def: $sgpr19
	s_branch .LBB0_59
.LBB0_58:                               ;   in Loop: Header=BB0_59 Depth=2
	s_or_b32 exec_lo, exec_lo, s23
	s_delay_alu instid0(SALU_CYCLE_1) | instskip(NEXT) | instid1(SALU_CYCLE_1)
	s_and_b32 s21, exec_lo, s22
	s_or_b32 s17, s21, s17
	s_and_not1_b32 s18, s18, exec_lo
	s_and_b32 s21, s19, exec_lo
	s_delay_alu instid0(SALU_CYCLE_1)
	s_or_b32 s18, s18, s21
	s_and_not1_b32 exec_lo, exec_lo, s17
	s_cbranch_execz .LBB0_65
.LBB0_59:                               ;   Parent Loop BB0_32 Depth=1
                                        ; =>  This Inner Loop Header: Depth=2
	s_add_i32 s20, s20, 1
                                        ; implicit-def: $sgpr22
	s_delay_alu instid0(SALU_CYCLE_1) | instskip(SKIP_1) | instid1(SALU_CYCLE_1)
	s_cmpk_lg_i32 s20, 0x2710
	s_cselect_b32 s21, -1, 0
	s_and_b32 vcc_lo, exec_lo, s21
	s_cbranch_vccz .LBB0_63
.LBB0_60:                               ;   in Loop: Header=BB0_59 Depth=2
	s_and_not1_b32 s19, s19, exec_lo
	s_and_b32 s23, s22, exec_lo
	s_mov_b32 s22, -1
	s_or_b32 s19, s19, s23
	s_and_saveexec_b32 s23, s21
	s_cbranch_execz .LBB0_58
; %bb.61:                               ;   in Loop: Header=BB0_59 Depth=2
	s_sleep 1
	s_cbranch_execnz .LBB0_266
; %bb.62:                               ;   in Loop: Header=BB0_59 Depth=2
	ds_load_b64 v[17:18], v0
	s_and_not1_b32 s19, s19, exec_lo
	s_waitcnt lgkmcnt(0)
	v_cmp_ge_u64_e32 vcc_lo, v[17:18], v[2:3]
	s_or_not1_b32 s22, vcc_lo, exec_lo
	s_branch .LBB0_58
.LBB0_63:                               ;   in Loop: Header=BB0_59 Depth=2
	s_cbranch_execnz .LBB0_274
; %bb.64:                               ;   in Loop: Header=BB0_59 Depth=2
	ds_load_b64 v[17:18], v0
	s_and_not1_b32 s21, s21, exec_lo
	s_mov_b32 s20, 0
	s_mov_b32 s22, -1
	s_waitcnt lgkmcnt(0)
	flat_load_b32 v17, v[17:18] glc
	s_waitcnt vmcnt(0) lgkmcnt(0)
	buffer_gl1_inv
	buffer_gl0_inv
	v_cmp_eq_u32_e32 vcc_lo, 0, v17
	s_and_b32 s23, vcc_lo, exec_lo
	s_delay_alu instid0(SALU_CYCLE_1)
	s_or_b32 s21, s21, s23
	s_branch .LBB0_60
.LBB0_65:                               ;   in Loop: Header=BB0_32 Depth=1
	s_or_b32 exec_lo, exec_lo, s17
	s_and_saveexec_b32 s17, s18
	s_delay_alu instid0(SALU_CYCLE_1)
	s_xor_b32 s17, exec_lo, s17
	s_cbranch_execz .LBB0_67
; %bb.66:                               ;   in Loop: Header=BB0_32 Depth=1
	ds_store_b32 v0, v144
	s_cbranch_execnz .LBB0_299
.LBB0_67:                               ;   in Loop: Header=BB0_32 Depth=1
	s_or_b32 exec_lo, exec_lo, s16
	;;#ASMSTART
	s_wakeup
	;;#ASMEND
.LBB0_68:                               ;   in Loop: Header=BB0_32 Depth=1
	s_or_b32 exec_lo, exec_lo, s9
.LBB0_69:                               ;   in Loop: Header=BB0_32 Depth=1
	s_and_not1_saveexec_b32 s8, s8
	s_cbranch_execz .LBB0_71
; %bb.70:                               ;   in Loop: Header=BB0_32 Depth=1
	s_waitcnt vmcnt(0) lgkmcnt(0)
	s_waitcnt_vscnt null, 0x0
	buffer_gl1_inv
	buffer_gl0_inv
	s_barrier
.LBB0_71:                               ;   in Loop: Header=BB0_32 Depth=1
	s_or_b32 exec_lo, exec_lo, s8
.LBB0_72:                               ;   in Loop: Header=BB0_32 Depth=1
	s_delay_alu instid0(SALU_CYCLE_1) | instskip(SKIP_2) | instid1(VALU_DEP_2)
	s_or_b32 exec_lo, exec_lo, s7
	v_sub_nc_u32_e32 v147, v146, v4
	v_mov_b32_e32 v96, v4
	v_cmp_lt_i32_e64 s7, 0, v147
	s_delay_alu instid0(VALU_DEP_1)
	s_and_saveexec_b32 s9, s7
	s_cbranch_execz .LBB0_76
; %bb.73:                               ;   in Loop: Header=BB0_32 Depth=1
	v_dual_mov_b32 v100, v21 :: v_dual_and_b32 v17, 7, v21
	s_waitcnt vmcnt(0) lgkmcnt(0)
	v_ashrrev_i32_e32 v20, 31, v19
	v_mad_u64_u32 v[97:98], null, v5, v19, v[9:10]
	s_delay_alu instid0(VALU_DEP_3) | instskip(SKIP_1) | instid1(VALU_DEP_4)
	v_mul_lo_u32 v17, v17, s14
	v_mul_lo_u32 v96, v6, v19
	;; [unrolled: 1-line block ×3, first 2 shown]
	v_add_co_u32 v101, vcc_lo, 0, 0
	v_mov_b32_e32 v64, v147
	s_mov_b32 s16, 0
	v_ashrrev_i32_e32 v18, 31, v17
	s_delay_alu instid0(VALU_DEP_4) | instskip(SKIP_1) | instid1(VALU_DEP_3)
	v_add3_u32 v98, v96, v98, v99
	v_mov_b32_e32 v96, v4
	v_lshlrev_b64 v[19:20], 4, v[17:18]
	v_add_co_ci_u32_e32 v18, vcc_lo, 1, v100, vcc_lo
	s_delay_alu instid0(VALU_DEP_2) | instskip(NEXT) | instid1(VALU_DEP_3)
	v_add_co_u32 v99, vcc_lo, v134, v19
	v_add_co_ci_u32_e32 v100, vcc_lo, v135, v20, vcc_lo
	.p2align	6
.LBB0_74:                               ;   Parent Loop BB0_32 Depth=1
                                        ; =>  This Inner Loop Header: Depth=2
	flat_load_b64 v[102:103], v[97:98] glc
	v_mov_b32_e32 v20, v18
	v_sub_nc_u32_e32 v64, v64, v1
	v_add_co_u32 v97, vcc_lo, v97, v82
	v_add_co_ci_u32_e32 v98, vcc_lo, v98, v83, vcc_lo
	s_delay_alu instid0(VALU_DEP_3)
	v_cmp_gt_i32_e32 vcc_lo, 1, v64
	v_add_nc_u32_e32 v96, v96, v1
	s_or_b32 s16, vcc_lo, s16
	s_waitcnt vmcnt(0) lgkmcnt(0)
	v_mov_b32_e32 v19, v103
	v_or_b32_e32 v17, v102, v101
	s_delay_alu instid0(VALU_DEP_2) | instskip(SKIP_2) | instid1(VALU_DEP_1)
	v_or_b32_e32 v19, v19, v101
	global_store_b128 v[99:100], v[17:20], off
	v_add_co_u32 v99, s8, v99, v86
	v_add_co_ci_u32_e64 v100, s8, v100, v87, s8
	s_and_not1_b32 exec_lo, exec_lo, s16
	s_cbranch_execnz .LBB0_74
; %bb.75:                               ;   in Loop: Header=BB0_32 Depth=1
	s_or_b32 exec_lo, exec_lo, s16
.LBB0_76:                               ;   in Loop: Header=BB0_32 Depth=1
	s_delay_alu instid0(SALU_CYCLE_1) | instskip(SKIP_2) | instid1(VALU_DEP_2)
	s_or_b32 exec_lo, exec_lo, s9
	v_and_b32_e32 v64, 0x7ffffff8, v21
	v_cmp_gt_i32_e64 s8, s14, v96
	v_cmp_eq_u64_e32 vcc_lo, 0x7ffffff8, v[64:65]
	s_delay_alu instid0(VALU_DEP_2) | instskip(NEXT) | instid1(SALU_CYCLE_1)
	s_and_b32 s8, vcc_lo, s8
	s_and_saveexec_b32 s9, s8
	s_cbranch_execz .LBB0_79
; %bb.77:                               ;   in Loop: Header=BB0_32 Depth=1
	v_dual_mov_b32 v64, v21 :: v_dual_and_b32 v17, 7, v21
	v_ashrrev_i32_e32 v97, 31, v96
	s_mov_b32 s16, 0
	s_delay_alu instid0(VALU_DEP_2) | instskip(SKIP_1) | instid1(VALU_DEP_2)
	v_mul_lo_u32 v17, v17, s14
	s_waitcnt vmcnt(0) lgkmcnt(0)
	v_lshlrev_b64 v[19:20], 4, v[96:97]
	s_delay_alu instid0(VALU_DEP_2) | instskip(NEXT) | instid1(VALU_DEP_1)
	v_ashrrev_i32_e32 v18, 31, v17
	v_lshlrev_b64 v[17:18], 4, v[17:18]
	s_delay_alu instid0(VALU_DEP_1) | instskip(NEXT) | instid1(VALU_DEP_2)
	v_add_co_u32 v19, vcc_lo, v19, v17
	v_add_co_ci_u32_e32 v20, vcc_lo, v20, v18, vcc_lo
	v_add_co_u32 v17, vcc_lo, 0, 0
	v_add_co_ci_u32_e32 v18, vcc_lo, 1, v64, vcc_lo
	s_delay_alu instid0(VALU_DEP_4) | instskip(NEXT) | instid1(VALU_DEP_4)
	v_add_co_u32 v97, vcc_lo, v48, v19
	v_add_co_ci_u32_e32 v98, vcc_lo, v49, v20, vcc_lo
.LBB0_78:                               ;   Parent Loop BB0_32 Depth=1
                                        ; =>  This Inner Loop Header: Depth=2
	s_delay_alu instid0(VALU_DEP_4) | instskip(NEXT) | instid1(VALU_DEP_4)
	v_dual_mov_b32 v19, v17 :: v_dual_add_nc_u32 v96, v96, v1
	v_mov_b32_e32 v20, v18
	s_delay_alu instid0(VALU_DEP_2) | instskip(SKIP_2) | instid1(VALU_DEP_1)
	v_cmp_le_i32_e32 vcc_lo, s14, v96
	global_store_b128 v[97:98], v[17:20], off
	v_add_co_u32 v97, s8, v97, v86
	v_add_co_ci_u32_e64 v98, s8, v98, v87, s8
	s_or_b32 s16, vcc_lo, s16
	s_delay_alu instid0(SALU_CYCLE_1)
	s_and_not1_b32 exec_lo, exec_lo, s16
	s_cbranch_execnz .LBB0_78
.LBB0_79:                               ;   in Loop: Header=BB0_32 Depth=1
	s_or_b32 exec_lo, exec_lo, s9
	v_add_co_u32 v96, vcc_lo, v84, v25
	v_add_co_ci_u32_e32 v97, vcc_lo, v85, v26, vcc_lo
	v_add_co_u32 v98, vcc_lo, v21, 1
	v_add_co_ci_u32_e32 v99, vcc_lo, 0, v22, vcc_lo
	s_and_not1_b32 vcc_lo, exec_lo, s15
	s_cbranch_vccnz .LBB0_167
; %bb.80:                               ;   in Loop: Header=BB0_32 Depth=1
	v_lshlrev_b64 v[17:18], 3, v[96:97]
	v_add_nc_u16 v150, v21, 1
	s_mov_b32 s16, 2
	s_delay_alu instid0(VALU_DEP_2) | instskip(NEXT) | instid1(VALU_DEP_3)
	v_add_co_u32 v148, vcc_lo, v128, v17
	v_add_co_ci_u32_e32 v149, vcc_lo, v129, v18, vcc_lo
.LBB0_81:                               ;   Parent Loop BB0_32 Depth=1
                                        ; =>  This Loop Header: Depth=2
                                        ;       Child Loop BB0_88 Depth 3
                                        ;       Child Loop BB0_108 Depth 3
	;; [unrolled: 1-line block ×3, first 2 shown]
                                        ;         Child Loop BB0_130 Depth 4
                                        ;       Child Loop BB0_148 Depth 3
                                        ;       Child Loop BB0_165 Depth 3
	s_sub_i32 s8, s10, s16
	s_delay_alu instid0(SALU_CYCLE_1) | instskip(NEXT) | instid1(SALU_CYCLE_1)
	s_ashr_i32 s9, s8, 31
	s_lshl_b64 s[8:9], s[8:9], 2
	s_delay_alu instid0(SALU_CYCLE_1)
	v_add_co_u32 v17, vcc_lo, v23, s8
	v_add_co_ci_u32_e32 v18, vcc_lo, s9, v24, vcc_lo
	s_waitcnt vmcnt(0) lgkmcnt(0)
	flat_load_b32 v19, v[17:18]
	s_and_saveexec_b32 s8, s1
	s_cbranch_execz .LBB0_99
; %bb.82:                               ;   in Loop: Header=BB0_81 Depth=2
	v_add_co_u32 v17, vcc_lo, v15, 1
	v_add_co_ci_u32_e32 v18, vcc_lo, 0, v16, vcc_lo
	v_add_co_u32 v20, vcc_lo, v54, 8
	v_add_co_ci_u32_e32 v21, vcc_lo, 0, v55, vcc_lo
	s_mov_b32 s9, exec_lo
	s_delay_alu instid0(VALU_DEP_1)
	v_cmpx_lt_u64_e64 v[20:21], v[17:18]
	s_cbranch_execz .LBB0_96
; %bb.83:                               ;   in Loop: Header=BB0_81 Depth=2
	s_sleep 1
	flat_load_b64 v[54:55], v[52:53] glc
	v_cmp_eq_u32_e32 vcc_lo, 0, v145
	s_and_saveexec_b32 s17, vcc_lo
	s_cbranch_execz .LBB0_95
; %bb.84:                               ;   in Loop: Header=BB0_81 Depth=2
	v_cndmask_b32_e64 v16, 0, 1, vcc_lo
	s_mov_b32 s18, 0
                                        ; implicit-def: $sgpr19
	s_branch .LBB0_88
.LBB0_85:                               ;   in Loop: Header=BB0_88 Depth=3
	s_or_b32 exec_lo, exec_lo, s22
	s_delay_alu instid0(SALU_CYCLE_1)
	s_or_not1_b32 s22, s23, exec_lo
.LBB0_86:                               ;   in Loop: Header=BB0_88 Depth=3
	s_or_b32 exec_lo, exec_lo, s21
	s_xor_b32 s21, s22, -1
	s_and_not1_b32 s19, s19, exec_lo
	s_and_b32 s21, s21, exec_lo
	s_delay_alu instid0(SALU_CYCLE_1)
	s_or_b32 s19, s19, s21
.LBB0_87:                               ;   in Loop: Header=BB0_88 Depth=3
	s_or_b32 exec_lo, exec_lo, s20
	s_delay_alu instid0(SALU_CYCLE_1) | instskip(NEXT) | instid1(SALU_CYCLE_1)
	s_and_b32 s20, exec_lo, s19
	s_or_b32 s18, s20, s18
	s_delay_alu instid0(SALU_CYCLE_1)
	s_and_not1_b32 exec_lo, exec_lo, s18
	s_cbranch_execz .LBB0_94
.LBB0_88:                               ;   Parent Loop BB0_32 Depth=1
                                        ;     Parent Loop BB0_81 Depth=2
                                        ; =>    This Inner Loop Header: Depth=3
	s_waitcnt vmcnt(0) lgkmcnt(0)
	v_add_co_u32 v20, vcc_lo, v54, 8
	v_add_co_ci_u32_e32 v21, vcc_lo, 0, v55, vcc_lo
	v_mov_b32_e32 v145, 0
	s_or_b32 s19, s19, exec_lo
	s_mov_b32 s20, exec_lo
	s_delay_alu instid0(VALU_DEP_2)
	v_cmpx_lt_u64_e64 v[20:21], v[17:18]
	s_cbranch_execz .LBB0_87
; %bb.89:                               ;   in Loop: Header=BB0_88 Depth=3
	s_sleep 1
	flat_load_b64 v[54:55], v[52:53] glc
	v_dual_mov_b32 v145, 0 :: v_dual_add_nc_u32 v16, 1, v16
	s_mov_b32 s22, -1
	s_mov_b32 s21, exec_lo
	s_delay_alu instid0(VALU_DEP_1)
	v_cmpx_eq_u32_e32 0x2710, v16
	s_cbranch_execz .LBB0_86
; %bb.90:                               ;   in Loop: Header=BB0_88 Depth=3
	s_cbranch_execnz .LBB0_235
; %bb.91:                               ;   in Loop: Header=BB0_88 Depth=3
	ds_load_b64 v[20:21], v0
	v_dual_mov_b32 v16, 0 :: v_dual_mov_b32 v145, 0
	s_mov_b32 s23, -1
	s_mov_b32 s22, exec_lo
	s_waitcnt vmcnt(0) lgkmcnt(0)
	s_waitcnt_vscnt null, 0x0
	flat_load_b32 v20, v[20:21] glc
	s_waitcnt vmcnt(0) lgkmcnt(0)
	buffer_gl1_inv
	buffer_gl0_inv
	v_cmpx_ne_u32_e32 0, v20
	s_cbranch_execz .LBB0_85
; %bb.92:                               ;   in Loop: Header=BB0_88 Depth=3
	ds_store_b32 v0, v20
	s_cbranch_execnz .LBB0_262
; %bb.93:                               ;   in Loop: Header=BB0_88 Depth=3
	v_mov_b32_e32 v145, 1
	s_xor_b32 s23, exec_lo, -1
	s_branch .LBB0_85
.LBB0_94:                               ;   in Loop: Header=BB0_81 Depth=2
	s_or_b32 exec_lo, exec_lo, s18
.LBB0_95:                               ;   in Loop: Header=BB0_81 Depth=2
	s_delay_alu instid0(SALU_CYCLE_1)
	s_or_b32 exec_lo, exec_lo, s17
.LBB0_96:                               ;   in Loop: Header=BB0_81 Depth=2
	s_delay_alu instid0(SALU_CYCLE_1)
	s_or_b32 exec_lo, exec_lo, s9
	s_and_saveexec_b32 s9, s2
	s_cbranch_execz .LBB0_98
; %bb.97:                               ;   in Loop: Header=BB0_81 Depth=2
	v_and_b32_e32 v64, 0x7ffffff8, v15
	v_and_b32_e32 v22, 7, v15
	s_delay_alu instid0(VALU_DEP_2) | instskip(NEXT) | instid1(VALU_DEP_2)
	v_cmp_eq_u64_e32 vcc_lo, 0x7ffffff8, v[64:65]
	v_mad_u64_u32 v[20:21], null, v22, 24, v[13:14]
	v_cndmask_b32_e64 v16, v146, s14, vcc_lo
	s_delay_alu instid0(VALU_DEP_1) | instskip(NEXT) | instid1(VALU_DEP_1)
	v_lshlrev_b32_e32 v15, 4, v16
	v_ashrrev_i32_e32 v16, 31, v15
	flat_store_b64 v[20:21], v[15:16] offset:8 dlc
	s_waitcnt_vscnt null, 0x0
.LBB0_98:                               ;   in Loop: Header=BB0_81 Depth=2
	s_or_b32 exec_lo, exec_lo, s9
	v_dual_mov_b32 v15, v17 :: v_dual_mov_b32 v16, v18
.LBB0_99:                               ;   in Loop: Header=BB0_81 Depth=2
	s_or_b32 exec_lo, exec_lo, s8
	s_and_saveexec_b32 s8, s3
	s_cbranch_execz .LBB0_121
; %bb.100:                              ;   in Loop: Header=BB0_81 Depth=2
	s_and_saveexec_b32 s9, s4
	s_delay_alu instid0(SALU_CYCLE_1)
	s_xor_b32 s9, exec_lo, s9
	s_cbranch_execz .LBB0_118
; %bb.101:                              ;   in Loop: Header=BB0_81 Depth=2
	s_and_saveexec_b32 s17, s5
	s_cbranch_execz .LBB0_117
; %bb.102:                              ;   in Loop: Header=BB0_81 Depth=2
	s_mov_b32 s19, exec_lo
	s_mov_b32 s18, exec_lo
	v_mbcnt_lo_u32_b32 v17, s19, 0
	s_waitcnt vmcnt(0) lgkmcnt(0)
	s_waitcnt_vscnt null, 0x0
	buffer_gl1_inv
	buffer_gl0_inv
	v_cmpx_eq_u32_e32 0, v17
	s_cbranch_execz .LBB0_104
; %bb.103:                              ;   in Loop: Header=BB0_81 Depth=2
	s_bcnt1_i32_b32 s19, s19
	s_delay_alu instid0(SALU_CYCLE_1)
	v_mov_b32_e32 v64, s19
	ds_add_u64 v0, v[64:65]
	s_cbranch_execnz .LBB0_260
.LBB0_104:                              ;   in Loop: Header=BB0_81 Depth=2
	s_or_b32 exec_lo, exec_lo, s18
	s_cbranch_execnz .LBB0_254
; %bb.105:                              ;   in Loop: Header=BB0_81 Depth=2
	ds_load_b64 v[17:18], v0
	v_add_co_u32 v2, vcc_lo, v2, v118
	v_add_co_ci_u32_e32 v3, vcc_lo, v3, v119, vcc_lo
	s_mov_b32 s18, exec_lo
	s_waitcnt lgkmcnt(0)
	s_delay_alu instid0(VALU_DEP_1)
	v_cmpx_lt_u64_e64 v[17:18], v[2:3]
	s_cbranch_execz .LBB0_116
; %bb.106:                              ;   in Loop: Header=BB0_81 Depth=2
	s_mov_b32 s19, 0
	s_mov_b32 s22, 0
                                        ; implicit-def: $sgpr20
                                        ; implicit-def: $sgpr21
	s_branch .LBB0_108
.LBB0_107:                              ;   in Loop: Header=BB0_108 Depth=3
	s_or_b32 exec_lo, exec_lo, s25
	s_delay_alu instid0(SALU_CYCLE_1) | instskip(NEXT) | instid1(SALU_CYCLE_1)
	s_and_b32 s23, exec_lo, s24
	s_or_b32 s19, s23, s19
	s_and_not1_b32 s20, s20, exec_lo
	s_and_b32 s23, s21, exec_lo
	s_delay_alu instid0(SALU_CYCLE_1)
	s_or_b32 s20, s20, s23
	s_and_not1_b32 exec_lo, exec_lo, s19
	s_cbranch_execz .LBB0_114
.LBB0_108:                              ;   Parent Loop BB0_32 Depth=1
                                        ;     Parent Loop BB0_81 Depth=2
                                        ; =>    This Inner Loop Header: Depth=3
	s_add_i32 s22, s22, 1
                                        ; implicit-def: $sgpr24
	s_delay_alu instid0(SALU_CYCLE_1) | instskip(SKIP_1) | instid1(SALU_CYCLE_1)
	s_cmpk_lg_i32 s22, 0x2710
	s_cselect_b32 s23, -1, 0
	s_and_b32 vcc_lo, exec_lo, s23
	s_cbranch_vccz .LBB0_112
.LBB0_109:                              ;   in Loop: Header=BB0_108 Depth=3
	s_and_not1_b32 s21, s21, exec_lo
	s_and_b32 s25, s24, exec_lo
	s_mov_b32 s24, -1
	s_or_b32 s21, s21, s25
	s_and_saveexec_b32 s25, s23
	s_cbranch_execz .LBB0_107
; %bb.110:                              ;   in Loop: Header=BB0_108 Depth=3
	s_sleep 1
	s_cbranch_execnz .LBB0_278
; %bb.111:                              ;   in Loop: Header=BB0_108 Depth=3
	ds_load_b64 v[17:18], v0
	s_and_not1_b32 s21, s21, exec_lo
	s_waitcnt lgkmcnt(0)
	v_cmp_ge_u64_e32 vcc_lo, v[17:18], v[2:3]
	s_or_not1_b32 s24, vcc_lo, exec_lo
	s_branch .LBB0_107
.LBB0_112:                              ;   in Loop: Header=BB0_108 Depth=3
	s_cbranch_execnz .LBB0_282
; %bb.113:                              ;   in Loop: Header=BB0_108 Depth=3
	ds_load_b64 v[17:18], v0
	s_and_not1_b32 s23, s23, exec_lo
	s_mov_b32 s22, 0
	s_mov_b32 s24, -1
	s_waitcnt lgkmcnt(0)
	flat_load_b32 v17, v[17:18] glc
	s_waitcnt vmcnt(0) lgkmcnt(0)
	buffer_gl1_inv
	buffer_gl0_inv
	v_cmp_eq_u32_e32 vcc_lo, 0, v17
	s_and_b32 s25, vcc_lo, exec_lo
	s_delay_alu instid0(SALU_CYCLE_1)
	s_or_b32 s23, s23, s25
	s_branch .LBB0_109
.LBB0_114:                              ;   in Loop: Header=BB0_81 Depth=2
	s_or_b32 exec_lo, exec_lo, s19
	s_and_saveexec_b32 s19, s20
	s_delay_alu instid0(SALU_CYCLE_1)
	s_xor_b32 s19, exec_lo, s19
	s_cbranch_execz .LBB0_116
; %bb.115:                              ;   in Loop: Header=BB0_81 Depth=2
	ds_store_b32 v0, v144
	s_cbranch_execnz .LBB0_303
.LBB0_116:                              ;   in Loop: Header=BB0_81 Depth=2
	s_or_b32 exec_lo, exec_lo, s18
	;;#ASMSTART
	s_wakeup
	;;#ASMEND
.LBB0_117:                              ;   in Loop: Header=BB0_81 Depth=2
	s_or_b32 exec_lo, exec_lo, s17
.LBB0_118:                              ;   in Loop: Header=BB0_81 Depth=2
	s_and_not1_saveexec_b32 s9, s9
	s_cbranch_execz .LBB0_120
; %bb.119:                              ;   in Loop: Header=BB0_81 Depth=2
	s_waitcnt vmcnt(0) lgkmcnt(0)
	s_waitcnt_vscnt null, 0x0
	buffer_gl1_inv
	buffer_gl0_inv
	s_barrier
.LBB0_120:                              ;   in Loop: Header=BB0_81 Depth=2
	s_or_b32 exec_lo, exec_lo, s9
.LBB0_121:                              ;   in Loop: Header=BB0_81 Depth=2
	s_delay_alu instid0(SALU_CYCLE_1)
	s_or_b32 exec_lo, exec_lo, s8
	v_mov_b32_e32 v100, v4
	s_and_saveexec_b32 s17, s7
	s_cbranch_execz .LBB0_139
; %bb.122:                              ;   in Loop: Header=BB0_81 Depth=2
	s_waitcnt vmcnt(0) lgkmcnt(0)
	v_ashrrev_i32_e32 v20, 31, v19
	v_mul_lo_u32 v22, v69, v19
	v_mad_u64_u32 v[17:18], null, v68, v19, 0
	v_dual_mov_b32 v100, v98 :: v_dual_and_b32 v19, 7, v34
	s_delay_alu instid0(VALU_DEP_4) | instskip(SKIP_1) | instid1(VALU_DEP_3)
	v_mul_lo_u32 v20, v68, v20
	v_dual_mov_b32 v164, v147 :: v_dual_and_b32 v21, 7, v98
	v_mul_lo_u32 v19, v19, s14
	v_add_nc_u32_e32 v64, 1, v34
	s_mov_b32 s18, 0
	s_delay_alu instid0(VALU_DEP_3) | instskip(SKIP_1) | instid1(VALU_DEP_4)
	v_mul_lo_u32 v21, v21, s14
	v_add3_u32 v18, v18, v20, v22
	v_ashrrev_i32_e32 v20, 31, v19
	s_delay_alu instid0(VALU_DEP_2) | instskip(NEXT) | instid1(VALU_DEP_4)
	v_lshlrev_b64 v[17:18], 3, v[17:18]
	v_ashrrev_i32_e32 v22, 31, v21
	s_delay_alu instid0(VALU_DEP_3) | instskip(NEXT) | instid1(VALU_DEP_2)
	v_lshlrev_b64 v[19:20], 4, v[19:20]
	v_lshlrev_b64 v[21:22], 4, v[21:22]
	s_delay_alu instid0(VALU_DEP_4) | instskip(SKIP_1) | instid1(VALU_DEP_4)
	v_add_co_u32 v102, vcc_lo, v148, v17
	v_add_co_ci_u32_e32 v103, vcc_lo, v149, v18, vcc_lo
	v_add_co_u32 v151, vcc_lo, v32, v19
	v_add_co_ci_u32_e32 v160, vcc_lo, v33, v20, vcc_lo
	;; [unrolled: 2-line block ×4, first 2 shown]
	v_mov_b32_e32 v100, v4
	s_branch .LBB0_126
.LBB0_123:                              ;   in Loop: Header=BB0_126 Depth=3
	s_or_b32 exec_lo, exec_lo, s20
	s_xor_b32 s8, s21, -1
	s_delay_alu instid0(SALU_CYCLE_1) | instskip(NEXT) | instid1(SALU_CYCLE_1)
	s_and_saveexec_b32 s20, s8
	s_xor_b32 s8, exec_lo, s20
	s_delay_alu instid0(SALU_CYCLE_1) | instskip(NEXT) | instid1(SALU_CYCLE_1)
	s_and_not1_saveexec_b32 s8, s8
	s_or_b32 exec_lo, exec_lo, s8
.LBB0_124:                              ;   in Loop: Header=BB0_126 Depth=3
	s_delay_alu instid0(SALU_CYCLE_1)
	s_or_b32 exec_lo, exec_lo, s9
.LBB0_125:                              ;   in Loop: Header=BB0_126 Depth=3
	s_delay_alu instid0(SALU_CYCLE_1)
	s_or_b32 exec_lo, exec_lo, s19
	v_xor_b32_e32 v117, v21, v28
	v_xor_b32_e32 v116, v19, v27
	s_waitcnt vmcnt(0) lgkmcnt(0)
	v_xor_b32_e32 v166, v113, v28
	v_xor_b32_e32 v165, v112, v27
	v_sub_nc_u32_e32 v164, v164, v1
	v_add_co_u32 v102, s8, v102, v82
	s_delay_alu instid0(VALU_DEP_1) | instskip(NEXT) | instid1(VALU_DEP_4)
	v_add_co_ci_u32_e64 v103, s8, v103, v83, s8
	v_cmp_lt_u64_e32 vcc_lo, v[116:117], v[165:166]
	v_add_nc_u32_e32 v100, v100, v1
	v_dual_cndmask_b32 v20, v113, v21 :: v_dual_cndmask_b32 v17, v112, v19
	v_add_co_u32 v21, vcc_lo, v161, v114
	v_add_co_ci_u32_e32 v22, vcc_lo, v162, v115, vcc_lo
	v_cmp_gt_i32_e32 vcc_lo, 1, v164
	s_delay_alu instid0(VALU_DEP_4)
	v_or_b32_e32 v17, v17, v163
	v_or_b32_e32 v19, v20, v163
	v_mov_b32_e32 v20, v18
	s_or_b32 s18, vcc_lo, s18
	global_store_b128 v[21:22], v[17:20], off
	s_and_not1_b32 exec_lo, exec_lo, s18
	s_cbranch_execz .LBB0_138
.LBB0_126:                              ;   Parent Loop BB0_32 Depth=1
                                        ;     Parent Loop BB0_81 Depth=2
                                        ; =>    This Loop Header: Depth=3
                                        ;         Child Loop BB0_130 Depth 4
	flat_load_b64 v[112:113], v[102:103] glc
	v_ashrrev_i32_e32 v101, 31, v100
	s_delay_alu instid0(VALU_DEP_1) | instskip(NEXT) | instid1(VALU_DEP_1)
	v_lshlrev_b64 v[114:115], 4, v[100:101]
	v_add_co_u32 v116, vcc_lo, v151, v114
	s_delay_alu instid0(VALU_DEP_2)
	v_add_co_ci_u32_e32 v117, vcc_lo, v160, v115, vcc_lo
	v_cmp_eq_u32_e32 vcc_lo, 0, v145
	;;#ASMSTART
	global_load_b128 v[19:22], v[116:117], off glc slc dlc
s_waitcnt vmcnt(0)

	;;#ASMEND
	s_and_saveexec_b32 s19, vcc_lo
	s_cbranch_execz .LBB0_125
; %bb.127:                              ;   in Loop: Header=BB0_126 Depth=3
	v_cmp_ne_u32_e64 s8, v64, v20
	v_cmp_ne_u32_e64 s9, v64, v22
	v_mov_b32_e32 v145, 0
	s_delay_alu instid0(VALU_DEP_2) | instskip(NEXT) | instid1(SALU_CYCLE_1)
	s_or_b32 s8, s8, s9
	s_and_saveexec_b32 s9, s8
	s_cbranch_execz .LBB0_124
; %bb.128:                              ;   in Loop: Header=BB0_126 Depth=3
	v_cndmask_b32_e64 v17, 0, 1, vcc_lo
	s_mov_b32 s20, 0
                                        ; implicit-def: $sgpr21
                                        ; implicit-def: $sgpr22
	s_branch .LBB0_130
.LBB0_129:                              ;   in Loop: Header=BB0_130 Depth=4
	s_or_b32 exec_lo, exec_lo, s23
	s_delay_alu instid0(SALU_CYCLE_1) | instskip(NEXT) | instid1(SALU_CYCLE_1)
	s_and_b32 s8, exec_lo, s8
	s_or_b32 s20, s8, s20
	s_and_not1_b32 s8, s21, exec_lo
	s_and_b32 s21, s22, exec_lo
	s_delay_alu instid0(SALU_CYCLE_1)
	s_or_b32 s21, s8, s21
	s_and_not1_b32 exec_lo, exec_lo, s20
	s_cbranch_execz .LBB0_123
.LBB0_130:                              ;   Parent Loop BB0_32 Depth=1
                                        ;     Parent Loop BB0_81 Depth=2
                                        ;       Parent Loop BB0_126 Depth=3
                                        ; =>      This Inner Loop Header: Depth=4
	s_delay_alu instid0(VALU_DEP_1)
	v_add_nc_u32_e32 v17, 1, v17
	v_mov_b32_e32 v145, 0
	s_mov_b32 s8, -1
	s_mov_b32 s24, -1
	s_mov_b32 s23, exec_lo
	;;#ASMSTART
	global_load_b128 v[19:22], v[116:117], off glc slc dlc
s_waitcnt vmcnt(0)

	;;#ASMEND
	v_cmpx_eq_u32_e32 0x2710, v17
	s_cbranch_execz .LBB0_136
; %bb.131:                              ;   in Loop: Header=BB0_130 Depth=4
	s_cbranch_execnz .LBB0_229
; %bb.132:                              ;   in Loop: Header=BB0_130 Depth=4
	ds_load_b64 v[165:166], v0
	v_mov_b32_e32 v17, 0
	v_mov_b32_e32 v145, 0
	s_mov_b32 s25, -1
	s_mov_b32 s24, exec_lo
	s_waitcnt vmcnt(0) lgkmcnt(0)
	s_waitcnt_vscnt null, 0x0
	flat_load_b32 v101, v[165:166] glc
	s_waitcnt vmcnt(0) lgkmcnt(0)
	buffer_gl1_inv
	buffer_gl0_inv
	v_cmpx_ne_u32_e32 0, v101
	s_cbranch_execz .LBB0_135
; %bb.133:                              ;   in Loop: Header=BB0_130 Depth=4
	ds_store_b32 v0, v101
	s_cbranch_execnz .LBB0_237
; %bb.134:                              ;   in Loop: Header=BB0_130 Depth=4
	v_mov_b32_e32 v145, 1
	s_xor_b32 s25, exec_lo, -1
.LBB0_135:                              ;   in Loop: Header=BB0_130 Depth=4
	s_or_b32 exec_lo, exec_lo, s24
	s_delay_alu instid0(SALU_CYCLE_1)
	s_or_not1_b32 s24, s25, exec_lo
.LBB0_136:                              ;   in Loop: Header=BB0_130 Depth=4
	s_or_b32 exec_lo, exec_lo, s23
	s_delay_alu instid0(SALU_CYCLE_1)
	s_or_b32 s22, s22, exec_lo
	s_and_saveexec_b32 s23, s24
	s_cbranch_execz .LBB0_129
; %bb.137:                              ;   in Loop: Header=BB0_130 Depth=4
	v_cmp_eq_u32_e32 vcc_lo, v64, v20
	v_cmp_eq_u32_e64 s8, v64, v22
	s_and_not1_b32 s22, s22, exec_lo
	s_delay_alu instid0(VALU_DEP_1) | instskip(NEXT) | instid1(SALU_CYCLE_1)
	s_and_b32 s8, vcc_lo, s8
	s_or_not1_b32 s8, s8, exec_lo
	s_branch .LBB0_129
.LBB0_138:                              ;   in Loop: Header=BB0_81 Depth=2
	s_or_b32 exec_lo, exec_lo, s18
.LBB0_139:                              ;   in Loop: Header=BB0_81 Depth=2
	s_delay_alu instid0(SALU_CYCLE_1)
	s_or_b32 exec_lo, exec_lo, s17
	s_and_saveexec_b32 s8, s3
	s_cbranch_execz .LBB0_161
; %bb.140:                              ;   in Loop: Header=BB0_81 Depth=2
	s_and_saveexec_b32 s9, s4
	s_delay_alu instid0(SALU_CYCLE_1)
	s_xor_b32 s9, exec_lo, s9
	s_cbranch_execz .LBB0_158
; %bb.141:                              ;   in Loop: Header=BB0_81 Depth=2
	s_and_saveexec_b32 s17, s5
	s_cbranch_execz .LBB0_157
; %bb.142:                              ;   in Loop: Header=BB0_81 Depth=2
	s_mov_b32 s19, exec_lo
	s_mov_b32 s18, exec_lo
	v_mbcnt_lo_u32_b32 v17, s19, 0
	s_waitcnt vmcnt(0) lgkmcnt(0)
	s_waitcnt_vscnt null, 0x0
	buffer_gl1_inv
	buffer_gl0_inv
	v_cmpx_eq_u32_e32 0, v17
	s_cbranch_execz .LBB0_144
; %bb.143:                              ;   in Loop: Header=BB0_81 Depth=2
	s_bcnt1_i32_b32 s19, s19
	s_delay_alu instid0(SALU_CYCLE_1)
	v_mov_b32_e32 v64, s19
	ds_add_u64 v0, v[64:65]
	s_cbranch_execnz .LBB0_272
.LBB0_144:                              ;   in Loop: Header=BB0_81 Depth=2
	s_or_b32 exec_lo, exec_lo, s18
	s_cbranch_execnz .LBB0_264
; %bb.145:                              ;   in Loop: Header=BB0_81 Depth=2
	ds_load_b64 v[17:18], v0
	v_add_co_u32 v2, vcc_lo, v2, v118
	v_add_co_ci_u32_e32 v3, vcc_lo, v3, v119, vcc_lo
	s_mov_b32 s18, exec_lo
	s_waitcnt lgkmcnt(0)
	s_delay_alu instid0(VALU_DEP_1)
	v_cmpx_lt_u64_e64 v[17:18], v[2:3]
	s_cbranch_execz .LBB0_156
; %bb.146:                              ;   in Loop: Header=BB0_81 Depth=2
	s_mov_b32 s19, 0
	s_mov_b32 s22, 0
                                        ; implicit-def: $sgpr20
                                        ; implicit-def: $sgpr21
	s_branch .LBB0_148
.LBB0_147:                              ;   in Loop: Header=BB0_148 Depth=3
	s_or_b32 exec_lo, exec_lo, s25
	s_delay_alu instid0(SALU_CYCLE_1) | instskip(NEXT) | instid1(SALU_CYCLE_1)
	s_and_b32 s23, exec_lo, s24
	s_or_b32 s19, s23, s19
	s_and_not1_b32 s20, s20, exec_lo
	s_and_b32 s23, s21, exec_lo
	s_delay_alu instid0(SALU_CYCLE_1)
	s_or_b32 s20, s20, s23
	s_and_not1_b32 exec_lo, exec_lo, s19
	s_cbranch_execz .LBB0_154
.LBB0_148:                              ;   Parent Loop BB0_32 Depth=1
                                        ;     Parent Loop BB0_81 Depth=2
                                        ; =>    This Inner Loop Header: Depth=3
	s_add_i32 s22, s22, 1
                                        ; implicit-def: $sgpr24
	s_delay_alu instid0(SALU_CYCLE_1) | instskip(SKIP_1) | instid1(SALU_CYCLE_1)
	s_cmpk_lg_i32 s22, 0x2710
	s_cselect_b32 s23, -1, 0
	s_and_b32 vcc_lo, exec_lo, s23
	s_cbranch_vccz .LBB0_152
.LBB0_149:                              ;   in Loop: Header=BB0_148 Depth=3
	s_and_not1_b32 s21, s21, exec_lo
	s_and_b32 s25, s24, exec_lo
	s_mov_b32 s24, -1
	s_or_b32 s21, s21, s25
	s_and_saveexec_b32 s25, s23
	s_cbranch_execz .LBB0_147
; %bb.150:                              ;   in Loop: Header=BB0_148 Depth=3
	s_sleep 1
	s_cbranch_execnz .LBB0_284
; %bb.151:                              ;   in Loop: Header=BB0_148 Depth=3
	ds_load_b64 v[17:18], v0
	s_and_not1_b32 s21, s21, exec_lo
	s_waitcnt lgkmcnt(0)
	v_cmp_ge_u64_e32 vcc_lo, v[17:18], v[2:3]
	s_or_not1_b32 s24, vcc_lo, exec_lo
	s_branch .LBB0_147
.LBB0_152:                              ;   in Loop: Header=BB0_148 Depth=3
	s_cbranch_execnz .LBB0_286
; %bb.153:                              ;   in Loop: Header=BB0_148 Depth=3
	ds_load_b64 v[17:18], v0
	s_and_not1_b32 s23, s23, exec_lo
	s_mov_b32 s22, 0
	s_mov_b32 s24, -1
	s_waitcnt lgkmcnt(0)
	flat_load_b32 v17, v[17:18] glc
	s_waitcnt vmcnt(0) lgkmcnt(0)
	buffer_gl1_inv
	buffer_gl0_inv
	v_cmp_eq_u32_e32 vcc_lo, 0, v17
	s_and_b32 s25, vcc_lo, exec_lo
	s_delay_alu instid0(SALU_CYCLE_1)
	s_or_b32 s23, s23, s25
	s_branch .LBB0_149
.LBB0_154:                              ;   in Loop: Header=BB0_81 Depth=2
	s_or_b32 exec_lo, exec_lo, s19
	s_and_saveexec_b32 s19, s20
	s_delay_alu instid0(SALU_CYCLE_1)
	s_xor_b32 s19, exec_lo, s19
	s_cbranch_execz .LBB0_156
; %bb.155:                              ;   in Loop: Header=BB0_81 Depth=2
	ds_store_b32 v0, v144
	s_cbranch_execnz .LBB0_305
.LBB0_156:                              ;   in Loop: Header=BB0_81 Depth=2
	s_or_b32 exec_lo, exec_lo, s18
	;;#ASMSTART
	s_wakeup
	;;#ASMEND
.LBB0_157:                              ;   in Loop: Header=BB0_81 Depth=2
	s_or_b32 exec_lo, exec_lo, s17
.LBB0_158:                              ;   in Loop: Header=BB0_81 Depth=2
	s_and_not1_saveexec_b32 s9, s9
	s_cbranch_execz .LBB0_160
; %bb.159:                              ;   in Loop: Header=BB0_81 Depth=2
	s_waitcnt vmcnt(0) lgkmcnt(0)
	s_waitcnt_vscnt null, 0x0
	buffer_gl1_inv
	buffer_gl0_inv
	s_barrier
.LBB0_160:                              ;   in Loop: Header=BB0_81 Depth=2
	s_or_b32 exec_lo, exec_lo, s9
.LBB0_161:                              ;   in Loop: Header=BB0_81 Depth=2
	s_delay_alu instid0(SALU_CYCLE_1)
	s_or_b32 exec_lo, exec_lo, s8
	s_and_saveexec_b32 s8, s6
	s_cbranch_execz .LBB0_163
; %bb.162:                              ;   in Loop: Header=BB0_81 Depth=2
	v_add_co_u32 v50, vcc_lo, v50, 1
	v_add_co_ci_u32_e32 v51, vcc_lo, 0, v51, vcc_lo
	s_waitcnt vmcnt(0) lgkmcnt(0)
	s_waitcnt_vscnt null, 0x0
	flat_store_b64 v[38:39], v[50:51]
.LBB0_163:                              ;   in Loop: Header=BB0_81 Depth=2
	s_or_b32 exec_lo, exec_lo, s8
	v_and_b32_e32 v64, 0x7ffffff8, v98
	v_cmp_gt_i32_e64 s8, s14, v100
	s_delay_alu instid0(VALU_DEP_2) | instskip(NEXT) | instid1(VALU_DEP_2)
	v_cmp_eq_u64_e32 vcc_lo, 0x7ffffff8, v[64:65]
	s_and_b32 s8, vcc_lo, s8
	s_delay_alu instid0(SALU_CYCLE_1)
	s_and_saveexec_b32 s9, s8
	s_cbranch_execz .LBB0_166
; %bb.164:                              ;   in Loop: Header=BB0_81 Depth=2
	v_and_b32_e32 v17, 7, v150
	v_ashrrev_i32_e32 v101, 31, v100
	v_mov_b32_e32 v21, v98
	s_mov_b32 s17, 0
	s_delay_alu instid0(VALU_DEP_3) | instskip(SKIP_2) | instid1(VALU_DEP_2)
	v_mul_lo_u32 v17, s14, v17
	s_waitcnt vmcnt(0) lgkmcnt(0)
	v_lshlrev_b64 v[19:20], 4, v[100:101]
	v_ashrrev_i32_e32 v18, 31, v17
	s_delay_alu instid0(VALU_DEP_1) | instskip(NEXT) | instid1(VALU_DEP_1)
	v_lshlrev_b64 v[17:18], 4, v[17:18]
	v_add_co_u32 v19, vcc_lo, v19, v17
	s_delay_alu instid0(VALU_DEP_2) | instskip(SKIP_2) | instid1(VALU_DEP_4)
	v_add_co_ci_u32_e32 v20, vcc_lo, v20, v18, vcc_lo
	v_add_co_u32 v17, vcc_lo, 0, 0
	v_add_co_ci_u32_e32 v18, vcc_lo, 1, v21, vcc_lo
	v_add_co_u32 v21, vcc_lo, v48, v19
	s_delay_alu instid0(VALU_DEP_4)
	v_add_co_ci_u32_e32 v22, vcc_lo, v49, v20, vcc_lo
.LBB0_165:                              ;   Parent Loop BB0_32 Depth=1
                                        ;     Parent Loop BB0_81 Depth=2
                                        ; =>    This Inner Loop Header: Depth=3
	s_delay_alu instid0(VALU_DEP_4) | instskip(NEXT) | instid1(VALU_DEP_4)
	v_dual_mov_b32 v19, v17 :: v_dual_add_nc_u32 v100, v100, v1
	v_mov_b32_e32 v20, v18
	s_delay_alu instid0(VALU_DEP_2) | instskip(SKIP_2) | instid1(VALU_DEP_1)
	v_cmp_le_i32_e32 vcc_lo, s14, v100
	global_store_b128 v[21:22], v[17:20], off
	v_add_co_u32 v21, s8, v21, v86
	v_add_co_ci_u32_e64 v22, s8, v22, v87, s8
	s_or_b32 s17, vcc_lo, s17
	s_delay_alu instid0(SALU_CYCLE_1)
	s_and_not1_b32 exec_lo, exec_lo, s17
	s_cbranch_execnz .LBB0_165
.LBB0_166:                              ;   in Loop: Header=BB0_81 Depth=2
	s_or_b32 exec_lo, exec_lo, s9
	v_add_co_u32 v34, vcc_lo, v34, 1
	v_add_co_ci_u32_e32 v35, vcc_lo, 0, v35, vcc_lo
	v_add_co_u32 v98, vcc_lo, v98, 1
	v_add_co_ci_u32_e32 v99, vcc_lo, 0, v99, vcc_lo
	v_add_nc_u16 v150, v150, 1
	s_add_i32 s16, s16, 1
	s_delay_alu instid0(SALU_CYCLE_1)
	s_cmp_eq_u32 s16, s10
	s_cbranch_scc0 .LBB0_81
.LBB0_167:                              ;   in Loop: Header=BB0_32 Depth=1
	s_delay_alu instid0(VALU_DEP_1)
	v_dual_mov_b32 v21, v98 :: v_dual_mov_b32 v22, v99
	s_and_saveexec_b32 s9, s7
	s_cbranch_execz .LBB0_189
; %bb.168:                              ;   in Loop: Header=BB0_32 Depth=1
	s_waitcnt vmcnt(0) lgkmcnt(0)
	flat_load_b32 v19, v[23:24]
	v_and_b32_e32 v64, 7, v34
	s_mov_b32 s16, 0
	s_delay_alu instid0(VALU_DEP_1)
	v_mul_lo_u32 v98, v64, s14
	v_add_nc_u32_e32 v64, 1, v34
	s_waitcnt vmcnt(0) lgkmcnt(0)
	v_ashrrev_i32_e32 v20, 31, v19
	v_mul_lo_u32 v99, v69, v19
	v_mad_u64_u32 v[17:18], null, v68, v19, 0
	s_delay_alu instid0(VALU_DEP_3) | instskip(SKIP_1) | instid1(VALU_DEP_2)
	v_mul_lo_u32 v100, v68, v20
	v_lshlrev_b64 v[19:20], 3, v[96:97]
	v_add3_u32 v18, v18, v100, v99
	s_delay_alu instid0(VALU_DEP_2) | instskip(SKIP_1) | instid1(VALU_DEP_4)
	v_add_co_u32 v100, vcc_lo, v11, v19
	v_ashrrev_i32_e32 v99, 31, v98
	v_add_co_ci_u32_e32 v101, vcc_lo, v12, v20, vcc_lo
	s_delay_alu instid0(VALU_DEP_4) | instskip(SKIP_3) | instid1(VALU_DEP_4)
	v_lshlrev_b64 v[17:18], 3, v[17:18]
	v_add_co_u32 v96, vcc_lo, v130, v19
	v_add_co_ci_u32_e32 v97, vcc_lo, v131, v20, vcc_lo
	v_lshlrev_b64 v[19:20], 4, v[98:99]
	v_add_co_u32 v17, vcc_lo, v100, v17
	v_add_co_ci_u32_e32 v18, vcc_lo, v101, v18, vcc_lo
	v_mov_b32_e32 v100, v4
	s_delay_alu instid0(VALU_DEP_4)
	v_add_co_u32 v114, vcc_lo, v32, v19
	v_add_co_ci_u32_e32 v115, vcc_lo, v33, v20, vcc_lo
	v_add_co_u32 v98, vcc_lo, v17, v80
	v_add_co_ci_u32_e32 v99, vcc_lo, v18, v81, vcc_lo
	s_branch .LBB0_170
.LBB0_169:                              ;   in Loop: Header=BB0_170 Depth=2
	v_sub_nc_u32_e32 v147, v147, v1
	v_add_co_u32 v98, vcc_lo, v98, v82
	v_add_co_ci_u32_e32 v99, vcc_lo, v99, v83, vcc_lo
	s_delay_alu instid0(VALU_DEP_3) | instskip(SKIP_1) | instid1(VALU_DEP_1)
	v_cmp_gt_i32_e32 vcc_lo, 1, v147
	v_add_co_u32 v96, s7, v96, v82
	v_add_co_ci_u32_e64 v97, s7, v97, v83, s7
	v_add_nc_u32_e32 v100, v100, v1
	s_or_b32 s16, vcc_lo, s16
	s_delay_alu instid0(SALU_CYCLE_1)
	s_and_not1_b32 exec_lo, exec_lo, s16
	s_cbranch_execz .LBB0_188
.LBB0_170:                              ;   Parent Loop BB0_32 Depth=1
                                        ; =>  This Loop Header: Depth=2
                                        ;       Child Loop BB0_174 Depth 3
	flat_load_b64 v[102:103], v[98:99] glc
	v_ashrrev_i32_e32 v101, 31, v100
	s_delay_alu instid0(VALU_DEP_1) | instskip(NEXT) | instid1(VALU_DEP_1)
	v_lshlrev_b64 v[17:18], 4, v[100:101]
	v_add_co_u32 v112, vcc_lo, v114, v17
	s_delay_alu instid0(VALU_DEP_2)
	v_add_co_ci_u32_e32 v113, vcc_lo, v115, v18, vcc_lo
	v_cmp_eq_u32_e32 vcc_lo, 0, v145
	;;#ASMSTART
	global_load_b128 v[17:20], v[112:113], off glc slc dlc
s_waitcnt vmcnt(0)

	;;#ASMEND
	s_and_saveexec_b32 s17, vcc_lo
	s_cbranch_execz .LBB0_184
; %bb.171:                              ;   in Loop: Header=BB0_170 Depth=2
	v_cmp_ne_u32_e64 s7, v64, v18
	v_cmp_ne_u32_e64 s8, v64, v20
	v_mov_b32_e32 v145, 0
	s_delay_alu instid0(VALU_DEP_2) | instskip(NEXT) | instid1(SALU_CYCLE_1)
	s_or_b32 s7, s7, s8
	s_and_saveexec_b32 s8, s7
	s_cbranch_execz .LBB0_183
; %bb.172:                              ;   in Loop: Header=BB0_170 Depth=2
	v_cndmask_b32_e64 v101, 0, 1, vcc_lo
	s_mov_b32 s18, 0
                                        ; implicit-def: $sgpr19
                                        ; implicit-def: $sgpr20
	s_branch .LBB0_174
.LBB0_173:                              ;   in Loop: Header=BB0_174 Depth=3
	s_or_b32 exec_lo, exec_lo, s21
	s_delay_alu instid0(SALU_CYCLE_1) | instskip(NEXT) | instid1(SALU_CYCLE_1)
	s_and_b32 s7, exec_lo, s7
	s_or_b32 s18, s7, s18
	s_and_not1_b32 s7, s19, exec_lo
	s_and_b32 s19, s20, exec_lo
	s_delay_alu instid0(SALU_CYCLE_1)
	s_or_b32 s19, s7, s19
	s_and_not1_b32 exec_lo, exec_lo, s18
	s_cbranch_execz .LBB0_182
.LBB0_174:                              ;   Parent Loop BB0_32 Depth=1
                                        ;     Parent Loop BB0_170 Depth=2
                                        ; =>    This Inner Loop Header: Depth=3
	s_delay_alu instid0(VALU_DEP_1)
	v_add_nc_u32_e32 v101, 1, v101
	v_mov_b32_e32 v145, 0
	s_mov_b32 s7, -1
	s_mov_b32 s22, -1
	s_mov_b32 s21, exec_lo
	;;#ASMSTART
	global_load_b128 v[17:20], v[112:113], off glc slc dlc
s_waitcnt vmcnt(0)

	;;#ASMEND
	v_cmpx_eq_u32_e32 0x2710, v101
	s_cbranch_execz .LBB0_180
; %bb.175:                              ;   in Loop: Header=BB0_174 Depth=3
	s_cbranch_execnz .LBB0_231
; %bb.176:                              ;   in Loop: Header=BB0_174 Depth=3
	ds_load_b64 v[116:117], v0
	v_mov_b32_e32 v101, 0
	v_mov_b32_e32 v145, 0
	s_mov_b32 s23, -1
	s_mov_b32 s22, exec_lo
	s_waitcnt vmcnt(0) lgkmcnt(0)
	s_waitcnt_vscnt null, 0x0
	flat_load_b32 v116, v[116:117] glc
	s_waitcnt vmcnt(0) lgkmcnt(0)
	buffer_gl1_inv
	buffer_gl0_inv
	v_cmpx_ne_u32_e32 0, v116
	s_cbranch_execz .LBB0_179
; %bb.177:                              ;   in Loop: Header=BB0_174 Depth=3
	ds_store_b32 v0, v116
	s_cbranch_execnz .LBB0_243
; %bb.178:                              ;   in Loop: Header=BB0_174 Depth=3
	v_mov_b32_e32 v145, 1
	s_xor_b32 s23, exec_lo, -1
.LBB0_179:                              ;   in Loop: Header=BB0_174 Depth=3
	s_or_b32 exec_lo, exec_lo, s22
	s_delay_alu instid0(SALU_CYCLE_1)
	s_or_not1_b32 s22, s23, exec_lo
.LBB0_180:                              ;   in Loop: Header=BB0_174 Depth=3
	s_or_b32 exec_lo, exec_lo, s21
	s_delay_alu instid0(SALU_CYCLE_1)
	s_or_b32 s20, s20, exec_lo
	s_and_saveexec_b32 s21, s22
	s_cbranch_execz .LBB0_173
; %bb.181:                              ;   in Loop: Header=BB0_174 Depth=3
	v_cmp_eq_u32_e32 vcc_lo, v64, v18
	v_cmp_eq_u32_e64 s7, v64, v20
	s_and_not1_b32 s20, s20, exec_lo
	s_delay_alu instid0(VALU_DEP_1) | instskip(NEXT) | instid1(SALU_CYCLE_1)
	s_and_b32 s7, vcc_lo, s7
	s_or_not1_b32 s7, s7, exec_lo
	s_branch .LBB0_173
.LBB0_182:                              ;   in Loop: Header=BB0_170 Depth=2
	s_or_b32 exec_lo, exec_lo, s18
	s_xor_b32 s7, s19, -1
	s_delay_alu instid0(SALU_CYCLE_1) | instskip(NEXT) | instid1(SALU_CYCLE_1)
	s_and_saveexec_b32 s18, s7
	s_xor_b32 s7, exec_lo, s18
	s_delay_alu instid0(SALU_CYCLE_1) | instskip(NEXT) | instid1(SALU_CYCLE_1)
	s_and_not1_saveexec_b32 s7, s7
	s_or_b32 exec_lo, exec_lo, s7
.LBB0_183:                              ;   in Loop: Header=BB0_170 Depth=2
	s_delay_alu instid0(SALU_CYCLE_1)
	s_or_b32 exec_lo, exec_lo, s8
.LBB0_184:                              ;   in Loop: Header=BB0_170 Depth=2
	s_delay_alu instid0(SALU_CYCLE_1)
	s_or_b32 exec_lo, exec_lo, s17
	v_xor_b32_e32 v113, v19, v28
	v_xor_b32_e32 v112, v17, v27
	s_waitcnt vmcnt(0) lgkmcnt(0)
	v_xor_b32_e32 v117, v103, v28
	v_xor_b32_e32 v116, v102, v27
	s_delay_alu instid0(VALU_DEP_1) | instskip(SKIP_2) | instid1(VALU_DEP_1)
	v_cmp_lt_u64_e32 vcc_lo, v[112:113], v[116:117]
	v_dual_mov_b32 v18, v132 :: v_dual_cndmask_b32 v17, v102, v17
	;;#ASMSTART
	;;#ASMEND
	v_cmp_ne_u32_e64 s7, 0, v18
	v_cndmask_b32_e32 v18, v103, v19, vcc_lo
	s_delay_alu instid0(VALU_DEP_2)
	s_cmp_lg_u32 s7, exec_lo
	s_mov_b32 s7, -1
	s_cbranch_scc0 .LBB0_186
; %bb.185:                              ;   in Loop: Header=BB0_170 Depth=2
	s_mov_b32 s7, 0
	flat_store_b64 v[96:97], v[17:18]
.LBB0_186:                              ;   in Loop: Header=BB0_170 Depth=2
	s_and_not1_b32 vcc_lo, exec_lo, s7
	s_cbranch_vccnz .LBB0_169
; %bb.187:                              ;   in Loop: Header=BB0_170 Depth=2
	global_store_b64 v[96:97], v[17:18], off
	s_branch .LBB0_169
.LBB0_188:                              ;   in Loop: Header=BB0_32 Depth=1
	s_or_b32 exec_lo, exec_lo, s16
.LBB0_189:                              ;   in Loop: Header=BB0_32 Depth=1
	s_delay_alu instid0(SALU_CYCLE_1)
	s_or_b32 exec_lo, exec_lo, s9
	s_and_saveexec_b32 s7, s3
	s_cbranch_execz .LBB0_211
; %bb.190:                              ;   in Loop: Header=BB0_32 Depth=1
	s_and_saveexec_b32 s8, s4
	s_delay_alu instid0(SALU_CYCLE_1)
	s_xor_b32 s8, exec_lo, s8
	s_cbranch_execz .LBB0_208
; %bb.191:                              ;   in Loop: Header=BB0_32 Depth=1
	s_and_saveexec_b32 s9, s5
	s_cbranch_execz .LBB0_207
; %bb.192:                              ;   in Loop: Header=BB0_32 Depth=1
	s_mov_b32 s17, exec_lo
	s_mov_b32 s16, exec_lo
	v_mbcnt_lo_u32_b32 v17, s17, 0
	s_waitcnt vmcnt(0) lgkmcnt(0)
	s_waitcnt_vscnt null, 0x0
	buffer_gl1_inv
	buffer_gl0_inv
	v_cmpx_eq_u32_e32 0, v17
	s_cbranch_execz .LBB0_194
; %bb.193:                              ;   in Loop: Header=BB0_32 Depth=1
	s_bcnt1_i32_b32 s17, s17
	s_delay_alu instid0(SALU_CYCLE_1)
	v_mov_b32_e32 v64, s17
	ds_add_u64 v0, v[64:65]
	s_cbranch_execnz .LBB0_280
.LBB0_194:                              ;   in Loop: Header=BB0_32 Depth=1
	s_or_b32 exec_lo, exec_lo, s16
	s_cbranch_execnz .LBB0_268
; %bb.195:                              ;   in Loop: Header=BB0_32 Depth=1
	ds_load_b64 v[17:18], v0
	v_add_co_u32 v2, vcc_lo, v2, v118
	v_add_co_ci_u32_e32 v3, vcc_lo, v3, v119, vcc_lo
	s_mov_b32 s16, exec_lo
	s_waitcnt lgkmcnt(0)
	s_delay_alu instid0(VALU_DEP_1)
	v_cmpx_lt_u64_e64 v[17:18], v[2:3]
	s_cbranch_execz .LBB0_206
; %bb.196:                              ;   in Loop: Header=BB0_32 Depth=1
	s_mov_b32 s17, 0
	s_mov_b32 s20, 0
                                        ; implicit-def: $sgpr18
                                        ; implicit-def: $sgpr19
	s_branch .LBB0_198
.LBB0_197:                              ;   in Loop: Header=BB0_198 Depth=2
	s_or_b32 exec_lo, exec_lo, s23
	s_delay_alu instid0(SALU_CYCLE_1) | instskip(NEXT) | instid1(SALU_CYCLE_1)
	s_and_b32 s21, exec_lo, s22
	s_or_b32 s17, s21, s17
	s_and_not1_b32 s18, s18, exec_lo
	s_and_b32 s21, s19, exec_lo
	s_delay_alu instid0(SALU_CYCLE_1)
	s_or_b32 s18, s18, s21
	s_and_not1_b32 exec_lo, exec_lo, s17
	s_cbranch_execz .LBB0_204
.LBB0_198:                              ;   Parent Loop BB0_32 Depth=1
                                        ; =>  This Inner Loop Header: Depth=2
	s_add_i32 s20, s20, 1
                                        ; implicit-def: $sgpr22
	s_delay_alu instid0(SALU_CYCLE_1) | instskip(SKIP_1) | instid1(SALU_CYCLE_1)
	s_cmpk_lg_i32 s20, 0x2710
	s_cselect_b32 s21, -1, 0
	s_and_b32 vcc_lo, exec_lo, s21
	s_cbranch_vccz .LBB0_202
.LBB0_199:                              ;   in Loop: Header=BB0_198 Depth=2
	s_and_not1_b32 s19, s19, exec_lo
	s_and_b32 s23, s22, exec_lo
	s_mov_b32 s22, -1
	s_or_b32 s19, s19, s23
	s_and_saveexec_b32 s23, s21
	s_cbranch_execz .LBB0_197
; %bb.200:                              ;   in Loop: Header=BB0_198 Depth=2
	s_sleep 1
	s_cbranch_execnz .LBB0_288
; %bb.201:                              ;   in Loop: Header=BB0_198 Depth=2
	ds_load_b64 v[17:18], v0
	s_and_not1_b32 s19, s19, exec_lo
	s_waitcnt lgkmcnt(0)
	v_cmp_ge_u64_e32 vcc_lo, v[17:18], v[2:3]
	s_or_not1_b32 s22, vcc_lo, exec_lo
	s_branch .LBB0_197
.LBB0_202:                              ;   in Loop: Header=BB0_198 Depth=2
	s_cbranch_execnz .LBB0_290
; %bb.203:                              ;   in Loop: Header=BB0_198 Depth=2
	ds_load_b64 v[17:18], v0
	s_and_not1_b32 s21, s21, exec_lo
	s_mov_b32 s20, 0
	s_mov_b32 s22, -1
	s_waitcnt lgkmcnt(0)
	flat_load_b32 v17, v[17:18] glc
	s_waitcnt vmcnt(0) lgkmcnt(0)
	buffer_gl1_inv
	buffer_gl0_inv
	v_cmp_eq_u32_e32 vcc_lo, 0, v17
	s_and_b32 s23, vcc_lo, exec_lo
	s_delay_alu instid0(SALU_CYCLE_1)
	s_or_b32 s21, s21, s23
	s_branch .LBB0_199
.LBB0_204:                              ;   in Loop: Header=BB0_32 Depth=1
	s_or_b32 exec_lo, exec_lo, s17
	s_and_saveexec_b32 s17, s18
	s_delay_alu instid0(SALU_CYCLE_1)
	s_xor_b32 s17, exec_lo, s17
	s_cbranch_execz .LBB0_206
; %bb.205:                              ;   in Loop: Header=BB0_32 Depth=1
	ds_store_b32 v0, v144
	s_cbranch_execnz .LBB0_307
.LBB0_206:                              ;   in Loop: Header=BB0_32 Depth=1
	s_or_b32 exec_lo, exec_lo, s16
	;;#ASMSTART
	s_wakeup
	;;#ASMEND
.LBB0_207:                              ;   in Loop: Header=BB0_32 Depth=1
	s_or_b32 exec_lo, exec_lo, s9
.LBB0_208:                              ;   in Loop: Header=BB0_32 Depth=1
	s_and_not1_saveexec_b32 s8, s8
	s_cbranch_execz .LBB0_210
; %bb.209:                              ;   in Loop: Header=BB0_32 Depth=1
	s_waitcnt vmcnt(0) lgkmcnt(0)
	s_waitcnt_vscnt null, 0x0
	buffer_gl1_inv
	buffer_gl0_inv
	s_barrier
.LBB0_210:                              ;   in Loop: Header=BB0_32 Depth=1
	s_or_b32 exec_lo, exec_lo, s8
.LBB0_211:                              ;   in Loop: Header=BB0_32 Depth=1
	s_delay_alu instid0(SALU_CYCLE_1)
	s_or_b32 exec_lo, exec_lo, s7
	s_and_saveexec_b32 s7, s6
	s_cbranch_execz .LBB0_213
; %bb.212:                              ;   in Loop: Header=BB0_32 Depth=1
	v_add_co_u32 v50, vcc_lo, v50, 1
	v_add_co_ci_u32_e32 v51, vcc_lo, 0, v51, vcc_lo
	s_waitcnt vmcnt(0) lgkmcnt(0)
	s_waitcnt_vscnt null, 0x0
	flat_store_b64 v[38:39], v[50:51]
.LBB0_213:                              ;   in Loop: Header=BB0_32 Depth=1
	s_or_b32 exec_lo, exec_lo, s7
	v_add_co_u32 v84, vcc_lo, v84, v66
	v_add_co_ci_u32_e32 v85, vcc_lo, 0, v85, vcc_lo
	v_add_co_u32 v34, vcc_lo, v34, 1
	v_add_co_ci_u32_e32 v35, vcc_lo, 0, v35, vcc_lo
	s_delay_alu instid0(VALU_DEP_3) | instskip(SKIP_1) | instid1(VALU_DEP_1)
	v_cmp_ge_u64_e32 vcc_lo, v[84:85], v[7:8]
	v_add_co_u32 v9, s7, v9, v133
	v_add_co_ci_u32_e64 v10, s7, 0, v10, s7
	s_or_b32 s11, vcc_lo, s11
	s_delay_alu instid0(SALU_CYCLE_1)
	s_and_not1_b32 exec_lo, exec_lo, s11
	s_cbranch_execnz .LBB0_32
; %bb.214:
	s_or_b32 exec_lo, exec_lo, s11
.LBB0_215:
	s_delay_alu instid0(SALU_CYCLE_1)
	s_or_b32 exec_lo, exec_lo, s13
	s_and_saveexec_b32 s1, s12
	s_cbranch_execz .LBB0_217
; %bb.216:
	s_waitcnt vmcnt(0) lgkmcnt(0)
	flat_store_b64 v[29:30], v[50:51] offset:104
.LBB0_217:
	s_or_b32 exec_lo, exec_lo, s1
	s_and_saveexec_b32 s1, s0
	s_cbranch_execz .LBB0_219
; %bb.218:
	s_waitcnt vmcnt(0) lgkmcnt(0)
	flat_store_b64 v[36:37], v[15:16] offset:104
.LBB0_219:
	s_or_b32 exec_lo, exec_lo, s1
	s_delay_alu instid0(SALU_CYCLE_1)
	s_mov_b32 s0, exec_lo
	v_cmpx_ne_u32_e32 32, v1
	s_cbranch_execz .LBB0_298
; %bb.220:
	s_mov_b32 s1, exec_lo
	v_cmpx_ne_u32_e64 v0, v1
	s_xor_b32 s1, exec_lo, s1
	s_cbranch_execz .LBB0_296
; %bb.221:
	v_and_b32_e32 v0, 31, v31
	s_mov_b32 s2, exec_lo
	s_delay_alu instid0(VALU_DEP_1)
	v_cmpx_eq_u32_e32 0, v0
	s_cbranch_execz .LBB0_295
; %bb.222:
	s_mov_b32 s4, exec_lo
	s_mov_b32 s3, exec_lo
	v_mbcnt_lo_u32_b32 v0, s4, 0
	s_waitcnt vmcnt(0) lgkmcnt(0)
	s_waitcnt_vscnt null, 0x0
	buffer_gl1_inv
	buffer_gl0_inv
	v_cmpx_eq_u32_e32 0, v0
	s_cbranch_execz .LBB0_224
; %bb.223:
	s_bcnt1_i32_b32 s4, s4
	s_delay_alu instid0(SALU_CYCLE_1)
	v_dual_mov_b32 v5, 0 :: v_dual_mov_b32 v4, s4
	ds_add_u64 v0, v[4:5]
	s_cbranch_execnz .LBB0_256
.LBB0_224:
	s_or_b32 exec_lo, exec_lo, s3
	s_cbranch_execnz .LBB0_241
; %bb.225:
	v_ashrrev_i32_e32 v0, 31, v1
	s_mov_b32 s3, exec_lo
	s_delay_alu instid0(VALU_DEP_1) | instskip(NEXT) | instid1(VALU_DEP_1)
	v_lshrrev_b32_e32 v0, 27, v0
	v_add_nc_u32_e32 v0, v1, v0
	ds_load_b64 v[4:5], v0
	v_ashrrev_i32_e32 v0, 5, v0
	s_delay_alu instid0(VALU_DEP_1) | instskip(SKIP_1) | instid1(VALU_DEP_2)
	v_ashrrev_i32_e32 v1, 31, v0
	v_add_co_u32 v0, vcc_lo, v2, v0
	v_add_co_ci_u32_e32 v1, vcc_lo, v3, v1, vcc_lo
	s_waitcnt lgkmcnt(0)
	s_delay_alu instid0(VALU_DEP_1)
	v_cmpx_lt_u64_e64 v[4:5], v[0:1]
	s_cbranch_execz .LBB0_294
; %bb.226:
	s_mov_b32 s4, 0
	s_mov_b32 s7, 0
                                        ; implicit-def: $sgpr5
                                        ; implicit-def: $sgpr6
	s_branch .LBB0_246
.LBB0_227:
	s_trap 2
	s_sendmsg_rtn_b32 s0, sendmsg(MSG_RTN_GET_DOORBELL)
	s_mov_b32 ttmp2, m0
	s_waitcnt lgkmcnt(0)
	s_and_b32 s0, s0, 0x3ff
	s_delay_alu instid0(SALU_CYCLE_1) | instskip(NEXT) | instid1(SALU_CYCLE_1)
	s_bitset1_b32 s0, 10
	s_mov_b32 m0, s0
	s_sendmsg sendmsg(MSG_INTERRUPT)
	s_mov_b32 m0, ttmp2
.LBB0_228:                              ; =>This Inner Loop Header: Depth=1
	s_sethalt 5
	s_branch .LBB0_228
.LBB0_229:
	s_trap 2
	s_sendmsg_rtn_b32 s0, sendmsg(MSG_RTN_GET_DOORBELL)
	s_mov_b32 ttmp2, m0
	s_waitcnt lgkmcnt(0)
	s_and_b32 s0, s0, 0x3ff
	s_delay_alu instid0(SALU_CYCLE_1) | instskip(NEXT) | instid1(SALU_CYCLE_1)
	s_bitset1_b32 s0, 10
	s_mov_b32 m0, s0
	s_sendmsg sendmsg(MSG_INTERRUPT)
	s_mov_b32 m0, ttmp2
.LBB0_230:                              ; =>This Inner Loop Header: Depth=1
	s_sethalt 5
	s_branch .LBB0_230
.LBB0_231:
	s_trap 2
	s_sendmsg_rtn_b32 s0, sendmsg(MSG_RTN_GET_DOORBELL)
	s_mov_b32 ttmp2, m0
	s_waitcnt lgkmcnt(0)
	s_and_b32 s0, s0, 0x3ff
	s_delay_alu instid0(SALU_CYCLE_1) | instskip(NEXT) | instid1(SALU_CYCLE_1)
	s_bitset1_b32 s0, 10
	s_mov_b32 m0, s0
	s_sendmsg sendmsg(MSG_INTERRUPT)
	s_mov_b32 m0, ttmp2
.LBB0_232:                              ; =>This Inner Loop Header: Depth=1
	s_sethalt 5
	s_branch .LBB0_232
.LBB0_233:
	s_trap 2
	s_sendmsg_rtn_b32 s0, sendmsg(MSG_RTN_GET_DOORBELL)
	s_mov_b32 ttmp2, m0
	s_waitcnt lgkmcnt(0)
	s_and_b32 s0, s0, 0x3ff
	s_delay_alu instid0(SALU_CYCLE_1) | instskip(NEXT) | instid1(SALU_CYCLE_1)
	s_bitset1_b32 s0, 10
	s_mov_b32 m0, s0
	s_sendmsg sendmsg(MSG_INTERRUPT)
	s_mov_b32 m0, ttmp2
.LBB0_234:                              ; =>This Inner Loop Header: Depth=1
	s_sethalt 5
	s_branch .LBB0_234
.LBB0_235:
	s_trap 2
	s_sendmsg_rtn_b32 s0, sendmsg(MSG_RTN_GET_DOORBELL)
	s_mov_b32 ttmp2, m0
	s_waitcnt lgkmcnt(0)
	s_and_b32 s0, s0, 0x3ff
	s_delay_alu instid0(SALU_CYCLE_1) | instskip(NEXT) | instid1(SALU_CYCLE_1)
	s_bitset1_b32 s0, 10
	s_mov_b32 m0, s0
	s_sendmsg sendmsg(MSG_INTERRUPT)
	s_mov_b32 m0, ttmp2
.LBB0_236:                              ; =>This Inner Loop Header: Depth=1
	s_sethalt 5
	s_branch .LBB0_236
.LBB0_237:
	s_trap 2
	s_sendmsg_rtn_b32 s0, sendmsg(MSG_RTN_GET_DOORBELL)
	s_mov_b32 ttmp2, m0
	s_waitcnt lgkmcnt(0)
	s_and_b32 s0, s0, 0x3ff
	s_delay_alu instid0(SALU_CYCLE_1) | instskip(NEXT) | instid1(SALU_CYCLE_1)
	s_bitset1_b32 s0, 10
	s_mov_b32 m0, s0
	s_sendmsg sendmsg(MSG_INTERRUPT)
	s_mov_b32 m0, ttmp2
.LBB0_238:                              ; =>This Inner Loop Header: Depth=1
	s_sethalt 5
	s_branch .LBB0_238
.LBB0_239:
	s_trap 2
	s_sendmsg_rtn_b32 s0, sendmsg(MSG_RTN_GET_DOORBELL)
	s_mov_b32 ttmp2, m0
	s_waitcnt lgkmcnt(0)
	s_and_b32 s0, s0, 0x3ff
	s_delay_alu instid0(SALU_CYCLE_1) | instskip(NEXT) | instid1(SALU_CYCLE_1)
	s_bitset1_b32 s0, 10
	s_mov_b32 m0, s0
	s_sendmsg sendmsg(MSG_INTERRUPT)
	s_mov_b32 m0, ttmp2
.LBB0_240:                              ; =>This Inner Loop Header: Depth=1
	s_sethalt 5
	s_branch .LBB0_240
.LBB0_241:
	s_trap 2
	s_sendmsg_rtn_b32 s0, sendmsg(MSG_RTN_GET_DOORBELL)
	s_mov_b32 ttmp2, m0
	s_waitcnt lgkmcnt(0)
	s_and_b32 s0, s0, 0x3ff
	s_delay_alu instid0(SALU_CYCLE_1) | instskip(NEXT) | instid1(SALU_CYCLE_1)
	s_bitset1_b32 s0, 10
	s_mov_b32 m0, s0
	s_sendmsg sendmsg(MSG_INTERRUPT)
	s_mov_b32 m0, ttmp2
.LBB0_242:                              ; =>This Inner Loop Header: Depth=1
	s_sethalt 5
	s_branch .LBB0_242
.LBB0_243:
	s_trap 2
	s_sendmsg_rtn_b32 s0, sendmsg(MSG_RTN_GET_DOORBELL)
	s_mov_b32 ttmp2, m0
	s_waitcnt lgkmcnt(0)
	s_and_b32 s0, s0, 0x3ff
	s_delay_alu instid0(SALU_CYCLE_1) | instskip(NEXT) | instid1(SALU_CYCLE_1)
	s_bitset1_b32 s0, 10
	s_mov_b32 m0, s0
	s_sendmsg sendmsg(MSG_INTERRUPT)
	s_mov_b32 m0, ttmp2
.LBB0_244:                              ; =>This Inner Loop Header: Depth=1
	s_sethalt 5
	s_branch .LBB0_244
.LBB0_245:                              ;   in Loop: Header=BB0_246 Depth=1
	s_or_b32 exec_lo, exec_lo, s10
	s_delay_alu instid0(SALU_CYCLE_1) | instskip(NEXT) | instid1(SALU_CYCLE_1)
	s_and_b32 s8, exec_lo, s9
	s_or_b32 s4, s8, s4
	s_and_not1_b32 s5, s5, exec_lo
	s_and_b32 s8, s6, exec_lo
	s_delay_alu instid0(SALU_CYCLE_1)
	s_or_b32 s5, s5, s8
	s_and_not1_b32 exec_lo, exec_lo, s4
	s_cbranch_execz .LBB0_292
.LBB0_246:                              ; =>This Inner Loop Header: Depth=1
	s_add_i32 s7, s7, 1
                                        ; implicit-def: $sgpr9
	s_delay_alu instid0(SALU_CYCLE_1) | instskip(SKIP_1) | instid1(SALU_CYCLE_1)
	s_cmpk_lg_i32 s7, 0x2710
	s_cselect_b32 s8, -1, 0
	s_and_b32 vcc_lo, exec_lo, s8
	s_cbranch_vccz .LBB0_250
.LBB0_247:                              ;   in Loop: Header=BB0_246 Depth=1
	s_and_not1_b32 s6, s6, exec_lo
	s_and_b32 s10, s9, exec_lo
	s_mov_b32 s9, -1
	s_or_b32 s6, s6, s10
	s_and_saveexec_b32 s10, s8
	s_cbranch_execz .LBB0_245
; %bb.248:                              ;   in Loop: Header=BB0_246 Depth=1
	s_sleep 1
	s_cbranch_execnz .LBB0_270
; %bb.249:                              ;   in Loop: Header=BB0_246 Depth=1
	ds_load_b64 v[2:3], v0
	s_and_not1_b32 s6, s6, exec_lo
	s_waitcnt lgkmcnt(0)
	v_cmp_ge_u64_e32 vcc_lo, v[2:3], v[0:1]
	s_or_not1_b32 s9, vcc_lo, exec_lo
	s_branch .LBB0_245
.LBB0_250:                              ;   in Loop: Header=BB0_246 Depth=1
	s_cbranch_execnz .LBB0_276
; %bb.251:                              ;   in Loop: Header=BB0_246 Depth=1
	ds_load_b64 v[2:3], v0
	s_and_not1_b32 s8, s8, exec_lo
	s_mov_b32 s7, 0
	s_mov_b32 s9, -1
	s_waitcnt lgkmcnt(0)
	flat_load_b32 v2, v[2:3] glc
	s_waitcnt vmcnt(0) lgkmcnt(0)
	buffer_gl1_inv
	buffer_gl0_inv
	v_cmp_eq_u32_e32 vcc_lo, 0, v2
	s_and_b32 s10, vcc_lo, exec_lo
	s_delay_alu instid0(SALU_CYCLE_1)
	s_or_b32 s8, s8, s10
	s_branch .LBB0_247
.LBB0_252:
	s_trap 2
	s_sendmsg_rtn_b32 s0, sendmsg(MSG_RTN_GET_DOORBELL)
	s_mov_b32 ttmp2, m0
	s_waitcnt lgkmcnt(0)
	s_and_b32 s0, s0, 0x3ff
	s_delay_alu instid0(SALU_CYCLE_1) | instskip(NEXT) | instid1(SALU_CYCLE_1)
	s_bitset1_b32 s0, 10
	s_mov_b32 m0, s0
	s_sendmsg sendmsg(MSG_INTERRUPT)
	s_mov_b32 m0, ttmp2
.LBB0_253:                              ; =>This Inner Loop Header: Depth=1
	s_sethalt 5
	s_branch .LBB0_253
.LBB0_254:
	s_trap 2
	s_sendmsg_rtn_b32 s0, sendmsg(MSG_RTN_GET_DOORBELL)
	s_mov_b32 ttmp2, m0
	s_waitcnt lgkmcnt(0)
	s_and_b32 s0, s0, 0x3ff
	s_delay_alu instid0(SALU_CYCLE_1) | instskip(NEXT) | instid1(SALU_CYCLE_1)
	s_bitset1_b32 s0, 10
	s_mov_b32 m0, s0
	s_sendmsg sendmsg(MSG_INTERRUPT)
	s_mov_b32 m0, ttmp2
.LBB0_255:                              ; =>This Inner Loop Header: Depth=1
	s_sethalt 5
	s_branch .LBB0_255
.LBB0_256:
	s_trap 2
	s_sendmsg_rtn_b32 s0, sendmsg(MSG_RTN_GET_DOORBELL)
	s_mov_b32 ttmp2, m0
	s_waitcnt lgkmcnt(0)
	s_and_b32 s0, s0, 0x3ff
	s_delay_alu instid0(SALU_CYCLE_1) | instskip(NEXT) | instid1(SALU_CYCLE_1)
	s_bitset1_b32 s0, 10
	s_mov_b32 m0, s0
	s_sendmsg sendmsg(MSG_INTERRUPT)
	s_mov_b32 m0, ttmp2
.LBB0_257:                              ; =>This Inner Loop Header: Depth=1
	s_sethalt 5
	s_branch .LBB0_257
.LBB0_258:
	s_trap 2
	s_sendmsg_rtn_b32 s0, sendmsg(MSG_RTN_GET_DOORBELL)
	s_mov_b32 ttmp2, m0
	s_waitcnt lgkmcnt(0)
	s_and_b32 s0, s0, 0x3ff
	s_delay_alu instid0(SALU_CYCLE_1) | instskip(NEXT) | instid1(SALU_CYCLE_1)
	s_bitset1_b32 s0, 10
	s_mov_b32 m0, s0
	s_sendmsg sendmsg(MSG_INTERRUPT)
	s_mov_b32 m0, ttmp2
.LBB0_259:                              ; =>This Inner Loop Header: Depth=1
	s_sethalt 5
	s_branch .LBB0_259
.LBB0_260:
	s_trap 2
	s_sendmsg_rtn_b32 s0, sendmsg(MSG_RTN_GET_DOORBELL)
	s_mov_b32 ttmp2, m0
	s_waitcnt lgkmcnt(0)
	s_and_b32 s0, s0, 0x3ff
	s_delay_alu instid0(SALU_CYCLE_1) | instskip(NEXT) | instid1(SALU_CYCLE_1)
	s_bitset1_b32 s0, 10
	s_mov_b32 m0, s0
	s_sendmsg sendmsg(MSG_INTERRUPT)
	s_mov_b32 m0, ttmp2
.LBB0_261:                              ; =>This Inner Loop Header: Depth=1
	s_sethalt 5
	s_branch .LBB0_261
.LBB0_262:
	s_trap 2
	s_sendmsg_rtn_b32 s0, sendmsg(MSG_RTN_GET_DOORBELL)
	s_mov_b32 ttmp2, m0
	s_waitcnt lgkmcnt(0)
	s_and_b32 s0, s0, 0x3ff
	s_delay_alu instid0(SALU_CYCLE_1) | instskip(NEXT) | instid1(SALU_CYCLE_1)
	s_bitset1_b32 s0, 10
	s_mov_b32 m0, s0
	s_sendmsg sendmsg(MSG_INTERRUPT)
	s_mov_b32 m0, ttmp2
.LBB0_263:                              ; =>This Inner Loop Header: Depth=1
	s_sethalt 5
	s_branch .LBB0_263
.LBB0_264:
	s_trap 2
	s_sendmsg_rtn_b32 s0, sendmsg(MSG_RTN_GET_DOORBELL)
	s_mov_b32 ttmp2, m0
	s_waitcnt lgkmcnt(0)
	s_and_b32 s0, s0, 0x3ff
	s_delay_alu instid0(SALU_CYCLE_1) | instskip(NEXT) | instid1(SALU_CYCLE_1)
	s_bitset1_b32 s0, 10
	s_mov_b32 m0, s0
	s_sendmsg sendmsg(MSG_INTERRUPT)
	s_mov_b32 m0, ttmp2
.LBB0_265:                              ; =>This Inner Loop Header: Depth=1
	s_sethalt 5
	s_branch .LBB0_265
.LBB0_266:
	s_trap 2
	s_sendmsg_rtn_b32 s0, sendmsg(MSG_RTN_GET_DOORBELL)
	s_mov_b32 ttmp2, m0
	s_waitcnt lgkmcnt(0)
	s_and_b32 s0, s0, 0x3ff
	s_delay_alu instid0(SALU_CYCLE_1) | instskip(NEXT) | instid1(SALU_CYCLE_1)
	s_bitset1_b32 s0, 10
	s_mov_b32 m0, s0
	s_sendmsg sendmsg(MSG_INTERRUPT)
	s_mov_b32 m0, ttmp2
.LBB0_267:                              ; =>This Inner Loop Header: Depth=1
	s_sethalt 5
	s_branch .LBB0_267
.LBB0_268:
	s_trap 2
	s_sendmsg_rtn_b32 s0, sendmsg(MSG_RTN_GET_DOORBELL)
	s_mov_b32 ttmp2, m0
	s_waitcnt lgkmcnt(0)
	s_and_b32 s0, s0, 0x3ff
	s_delay_alu instid0(SALU_CYCLE_1) | instskip(NEXT) | instid1(SALU_CYCLE_1)
	s_bitset1_b32 s0, 10
	s_mov_b32 m0, s0
	s_sendmsg sendmsg(MSG_INTERRUPT)
	s_mov_b32 m0, ttmp2
.LBB0_269:                              ; =>This Inner Loop Header: Depth=1
	s_sethalt 5
	s_branch .LBB0_269
.LBB0_270:
	s_trap 2
	s_sendmsg_rtn_b32 s0, sendmsg(MSG_RTN_GET_DOORBELL)
	s_mov_b32 ttmp2, m0
	s_waitcnt lgkmcnt(0)
	s_and_b32 s0, s0, 0x3ff
	s_delay_alu instid0(SALU_CYCLE_1) | instskip(NEXT) | instid1(SALU_CYCLE_1)
	s_bitset1_b32 s0, 10
	s_mov_b32 m0, s0
	s_sendmsg sendmsg(MSG_INTERRUPT)
	s_mov_b32 m0, ttmp2
.LBB0_271:                              ; =>This Inner Loop Header: Depth=1
	s_sethalt 5
	s_branch .LBB0_271
.LBB0_272:
	s_trap 2
	s_sendmsg_rtn_b32 s0, sendmsg(MSG_RTN_GET_DOORBELL)
	s_mov_b32 ttmp2, m0
	s_waitcnt lgkmcnt(0)
	s_and_b32 s0, s0, 0x3ff
	s_delay_alu instid0(SALU_CYCLE_1) | instskip(NEXT) | instid1(SALU_CYCLE_1)
	s_bitset1_b32 s0, 10
	s_mov_b32 m0, s0
	s_sendmsg sendmsg(MSG_INTERRUPT)
	s_mov_b32 m0, ttmp2
.LBB0_273:                              ; =>This Inner Loop Header: Depth=1
	s_sethalt 5
	s_branch .LBB0_273
.LBB0_274:
	s_trap 2
	s_sendmsg_rtn_b32 s0, sendmsg(MSG_RTN_GET_DOORBELL)
	s_mov_b32 ttmp2, m0
	s_waitcnt lgkmcnt(0)
	s_and_b32 s0, s0, 0x3ff
	s_delay_alu instid0(SALU_CYCLE_1) | instskip(NEXT) | instid1(SALU_CYCLE_1)
	s_bitset1_b32 s0, 10
	s_mov_b32 m0, s0
	s_sendmsg sendmsg(MSG_INTERRUPT)
	s_mov_b32 m0, ttmp2
.LBB0_275:                              ; =>This Inner Loop Header: Depth=1
	s_sethalt 5
	s_branch .LBB0_275
.LBB0_276:
	s_trap 2
	s_sendmsg_rtn_b32 s0, sendmsg(MSG_RTN_GET_DOORBELL)
	s_mov_b32 ttmp2, m0
	s_waitcnt lgkmcnt(0)
	s_and_b32 s0, s0, 0x3ff
	s_delay_alu instid0(SALU_CYCLE_1) | instskip(NEXT) | instid1(SALU_CYCLE_1)
	s_bitset1_b32 s0, 10
	s_mov_b32 m0, s0
	s_sendmsg sendmsg(MSG_INTERRUPT)
	s_mov_b32 m0, ttmp2
.LBB0_277:                              ; =>This Inner Loop Header: Depth=1
	s_sethalt 5
	s_branch .LBB0_277
.LBB0_278:
	s_trap 2
	s_sendmsg_rtn_b32 s0, sendmsg(MSG_RTN_GET_DOORBELL)
	s_mov_b32 ttmp2, m0
	s_waitcnt lgkmcnt(0)
	s_and_b32 s0, s0, 0x3ff
	s_delay_alu instid0(SALU_CYCLE_1) | instskip(NEXT) | instid1(SALU_CYCLE_1)
	s_bitset1_b32 s0, 10
	s_mov_b32 m0, s0
	s_sendmsg sendmsg(MSG_INTERRUPT)
	s_mov_b32 m0, ttmp2
.LBB0_279:                              ; =>This Inner Loop Header: Depth=1
	s_sethalt 5
	s_branch .LBB0_279
.LBB0_280:
	s_trap 2
	s_sendmsg_rtn_b32 s0, sendmsg(MSG_RTN_GET_DOORBELL)
	s_mov_b32 ttmp2, m0
	s_waitcnt lgkmcnt(0)
	s_and_b32 s0, s0, 0x3ff
	s_delay_alu instid0(SALU_CYCLE_1) | instskip(NEXT) | instid1(SALU_CYCLE_1)
	s_bitset1_b32 s0, 10
	s_mov_b32 m0, s0
	s_sendmsg sendmsg(MSG_INTERRUPT)
	s_mov_b32 m0, ttmp2
.LBB0_281:                              ; =>This Inner Loop Header: Depth=1
	s_sethalt 5
	s_branch .LBB0_281
.LBB0_282:
	s_trap 2
	s_sendmsg_rtn_b32 s0, sendmsg(MSG_RTN_GET_DOORBELL)
	s_mov_b32 ttmp2, m0
	s_waitcnt lgkmcnt(0)
	s_and_b32 s0, s0, 0x3ff
	s_delay_alu instid0(SALU_CYCLE_1) | instskip(NEXT) | instid1(SALU_CYCLE_1)
	s_bitset1_b32 s0, 10
	s_mov_b32 m0, s0
	s_sendmsg sendmsg(MSG_INTERRUPT)
	s_mov_b32 m0, ttmp2
.LBB0_283:                              ; =>This Inner Loop Header: Depth=1
	s_sethalt 5
	s_branch .LBB0_283
.LBB0_284:
	s_trap 2
	s_sendmsg_rtn_b32 s0, sendmsg(MSG_RTN_GET_DOORBELL)
	s_mov_b32 ttmp2, m0
	s_waitcnt lgkmcnt(0)
	s_and_b32 s0, s0, 0x3ff
	s_delay_alu instid0(SALU_CYCLE_1) | instskip(NEXT) | instid1(SALU_CYCLE_1)
	s_bitset1_b32 s0, 10
	s_mov_b32 m0, s0
	s_sendmsg sendmsg(MSG_INTERRUPT)
	s_mov_b32 m0, ttmp2
.LBB0_285:                              ; =>This Inner Loop Header: Depth=1
	s_sethalt 5
	s_branch .LBB0_285
.LBB0_286:
	s_trap 2
	s_sendmsg_rtn_b32 s0, sendmsg(MSG_RTN_GET_DOORBELL)
	s_mov_b32 ttmp2, m0
	s_waitcnt lgkmcnt(0)
	s_and_b32 s0, s0, 0x3ff
	s_delay_alu instid0(SALU_CYCLE_1) | instskip(NEXT) | instid1(SALU_CYCLE_1)
	s_bitset1_b32 s0, 10
	s_mov_b32 m0, s0
	s_sendmsg sendmsg(MSG_INTERRUPT)
	s_mov_b32 m0, ttmp2
.LBB0_287:                              ; =>This Inner Loop Header: Depth=1
	s_sethalt 5
	s_branch .LBB0_287
.LBB0_288:
	s_trap 2
	s_sendmsg_rtn_b32 s0, sendmsg(MSG_RTN_GET_DOORBELL)
	s_mov_b32 ttmp2, m0
	s_waitcnt lgkmcnt(0)
	s_and_b32 s0, s0, 0x3ff
	s_delay_alu instid0(SALU_CYCLE_1) | instskip(NEXT) | instid1(SALU_CYCLE_1)
	s_bitset1_b32 s0, 10
	s_mov_b32 m0, s0
	s_sendmsg sendmsg(MSG_INTERRUPT)
	s_mov_b32 m0, ttmp2
.LBB0_289:                              ; =>This Inner Loop Header: Depth=1
	s_sethalt 5
	s_branch .LBB0_289
.LBB0_290:
	s_trap 2
	s_sendmsg_rtn_b32 s0, sendmsg(MSG_RTN_GET_DOORBELL)
	s_mov_b32 ttmp2, m0
	s_waitcnt lgkmcnt(0)
	s_and_b32 s0, s0, 0x3ff
	s_delay_alu instid0(SALU_CYCLE_1) | instskip(NEXT) | instid1(SALU_CYCLE_1)
	s_bitset1_b32 s0, 10
	s_mov_b32 m0, s0
	s_sendmsg sendmsg(MSG_INTERRUPT)
	s_mov_b32 m0, ttmp2
.LBB0_291:                              ; =>This Inner Loop Header: Depth=1
	s_sethalt 5
	s_branch .LBB0_291
.LBB0_292:
	s_or_b32 exec_lo, exec_lo, s4
	s_and_saveexec_b32 s4, s5
	s_delay_alu instid0(SALU_CYCLE_1)
	s_xor_b32 s4, exec_lo, s4
	s_cbranch_execz .LBB0_294
; %bb.293:
	v_mov_b32_e32 v0, 1
	ds_store_b32 v0, v0
	s_cbranch_execnz .LBB0_301
.LBB0_294:
	s_or_b32 exec_lo, exec_lo, s3
	;;#ASMSTART
	s_wakeup
	;;#ASMEND
.LBB0_295:
	s_or_b32 exec_lo, exec_lo, s2
.LBB0_296:
	s_and_not1_saveexec_b32 s1, s1
	s_cbranch_execz .LBB0_298
; %bb.297:
	s_waitcnt vmcnt(0) lgkmcnt(0)
	s_waitcnt_vscnt null, 0x0
	buffer_gl1_inv
	buffer_gl0_inv
	s_barrier
.LBB0_298:
	s_or_b32 exec_lo, exec_lo, s0
	s_waitcnt vmcnt(0) lgkmcnt(0)
	s_setpc_b64 s[30:31]
.LBB0_299:
	s_trap 2
	s_sendmsg_rtn_b32 s0, sendmsg(MSG_RTN_GET_DOORBELL)
	s_mov_b32 ttmp2, m0
	s_waitcnt lgkmcnt(0)
	s_and_b32 s0, s0, 0x3ff
	s_delay_alu instid0(SALU_CYCLE_1) | instskip(NEXT) | instid1(SALU_CYCLE_1)
	s_bitset1_b32 s0, 10
	s_mov_b32 m0, s0
	s_sendmsg sendmsg(MSG_INTERRUPT)
	s_mov_b32 m0, ttmp2
.LBB0_300:                              ; =>This Inner Loop Header: Depth=1
	s_sethalt 5
	s_branch .LBB0_300
.LBB0_301:
	s_trap 2
	s_sendmsg_rtn_b32 s0, sendmsg(MSG_RTN_GET_DOORBELL)
	s_mov_b32 ttmp2, m0
	s_waitcnt lgkmcnt(0)
	s_and_b32 s0, s0, 0x3ff
	s_delay_alu instid0(SALU_CYCLE_1) | instskip(NEXT) | instid1(SALU_CYCLE_1)
	s_bitset1_b32 s0, 10
	s_mov_b32 m0, s0
	s_sendmsg sendmsg(MSG_INTERRUPT)
	s_mov_b32 m0, ttmp2
.LBB0_302:                              ; =>This Inner Loop Header: Depth=1
	s_sethalt 5
	s_branch .LBB0_302
.LBB0_303:
	s_trap 2
	s_sendmsg_rtn_b32 s0, sendmsg(MSG_RTN_GET_DOORBELL)
	s_mov_b32 ttmp2, m0
	s_waitcnt lgkmcnt(0)
	s_and_b32 s0, s0, 0x3ff
	s_delay_alu instid0(SALU_CYCLE_1) | instskip(NEXT) | instid1(SALU_CYCLE_1)
	s_bitset1_b32 s0, 10
	s_mov_b32 m0, s0
	s_sendmsg sendmsg(MSG_INTERRUPT)
	s_mov_b32 m0, ttmp2
.LBB0_304:                              ; =>This Inner Loop Header: Depth=1
	s_sethalt 5
	s_branch .LBB0_304
.LBB0_305:
	s_trap 2
	s_sendmsg_rtn_b32 s0, sendmsg(MSG_RTN_GET_DOORBELL)
	s_mov_b32 ttmp2, m0
	s_waitcnt lgkmcnt(0)
	s_and_b32 s0, s0, 0x3ff
	s_delay_alu instid0(SALU_CYCLE_1) | instskip(NEXT) | instid1(SALU_CYCLE_1)
	s_bitset1_b32 s0, 10
	s_mov_b32 m0, s0
	s_sendmsg sendmsg(MSG_INTERRUPT)
	s_mov_b32 m0, ttmp2
.LBB0_306:                              ; =>This Inner Loop Header: Depth=1
	s_sethalt 5
	s_branch .LBB0_306
.LBB0_307:
	s_trap 2
	s_sendmsg_rtn_b32 s0, sendmsg(MSG_RTN_GET_DOORBELL)
	s_mov_b32 ttmp2, m0
	s_waitcnt lgkmcnt(0)
	s_and_b32 s0, s0, 0x3ff
	s_delay_alu instid0(SALU_CYCLE_1) | instskip(NEXT) | instid1(SALU_CYCLE_1)
	s_bitset1_b32 s0, 10
	s_mov_b32 m0, s0
	s_sendmsg sendmsg(MSG_INTERRUPT)
	s_mov_b32 m0, ttmp2
.LBB0_308:                              ; =>This Inner Loop Header: Depth=1
	s_sethalt 5
	s_branch .LBB0_308
.Lfunc_end0:
	.size	_ZN12_GLOBAL__N_17runRingIm10FuncMinMaxImE7ProtoLLLi0ELi1ELi0EEEviiP15ncclDevWorkColl, .Lfunc_end0-_ZN12_GLOBAL__N_17runRingIm10FuncMinMaxImE7ProtoLLLi0ELi1ELi0EEEviiP15ncclDevWorkColl
                                        ; -- End function
	.section	.AMDGPU.csdata,"",@progbits
; Function info:
; codeLenInByte = 9332
; NumSgprs: 34
; NumVgprs: 167
; ScratchSize: 0
; MemoryBound: 0
	.text
	.p2align	2                               ; -- Begin function _Z50ncclDevFunc_ReduceScatter_RING_LL_MinMax_u64_0_0_1v
	.type	_Z50ncclDevFunc_ReduceScatter_RING_LL_MinMax_u64_0_0_1v,@function
_Z50ncclDevFunc_ReduceScatter_RING_LL_MinMax_u64_0_0_1v: ; @_Z50ncclDevFunc_ReduceScatter_RING_LL_MinMax_u64_0_0_1v
; %bb.0:
	s_waitcnt vmcnt(0) expcnt(0) lgkmcnt(0)
	s_mov_b32 s0, s33
	s_mov_b32 s33, s32
	s_or_saveexec_b32 s1, -1
	scratch_store_b32 off, v40, s33         ; 4-byte Folded Spill
	s_mov_b32 exec_lo, s1
	v_writelane_b32 v40, s0, 4
	s_add_i32 s32, s32, 16
	v_writelane_b32 v40, s34, 0
	v_writelane_b32 v40, s35, 1
	;; [unrolled: 1-line block ×4, first 2 shown]
	s_cbranch_execnz .LBB1_7
; %bb.1:
	ds_load_b32 v0, v0
	v_and_b32_e32 v167, 0x3ff, v31
	s_mov_b32 s0, exec_lo
	s_waitcnt lgkmcnt(0)
	s_delay_alu instid0(VALU_DEP_1)
	v_cmpx_lt_i32_e64 v167, v0
	s_cbranch_execz .LBB1_9
; %bb.2:
	s_load_b32 s1, s[8:9], 0x0
	v_mov_b32_e32 v1, 0
	s_waitcnt lgkmcnt(0)
	s_cmp_lt_u32 s12, s1
	s_cselect_b32 s1, 12, 18
	s_delay_alu instid0(SALU_CYCLE_1)
	s_add_u32 s2, s8, s1
	s_addc_u32 s3, s9, 0
	s_mov_b32 s1, 0
	global_load_u16 v1, v1, s[2:3]
	s_cbranch_execnz .LBB1_24
; %bb.3:
	ds_load_b32 v2, v0
	v_mov_b32_e32 v3, v167
                                        ; implicit-def: $vgpr4
	s_waitcnt vmcnt(0) lgkmcnt(0)
	v_mul_lo_u32 v2, v2, v1
	s_branch .LBB1_5
	.p2align	6
.LBB1_4:                                ;   in Loop: Header=BB1_5 Depth=1
	s_or_b32 exec_lo, exec_lo, s2
	v_add_nc_u32_e32 v3, v3, v1
	v_add_nc_u32_e32 v4, v4, v2
	s_delay_alu instid0(VALU_DEP_2) | instskip(SKIP_1) | instid1(SALU_CYCLE_1)
	v_cmp_ge_i32_e32 vcc_lo, v3, v0
	s_or_b32 s1, vcc_lo, s1
	s_and_not1_b32 exec_lo, exec_lo, s1
	s_cbranch_execz .LBB1_9
.LBB1_5:                                ; =>This Inner Loop Header: Depth=1
	ds_load_b32 v5, v4
	s_mov_b32 s2, exec_lo
	s_waitcnt lgkmcnt(0)
	v_and_b32_e32 v5, 0x1000000, v5
	s_delay_alu instid0(VALU_DEP_1)
	v_cmpx_ne_u32_e32 0, v5
	s_cbranch_execz .LBB1_4
; %bb.6:                                ;   in Loop: Header=BB1_5 Depth=1
	ds_load_b64 v[5:6], v4 offset:104
	s_waitcnt lgkmcnt(0)
	flat_load_b64 v[5:6], v[5:6]
	s_waitcnt vmcnt(0) lgkmcnt(0)
	ds_store_b64 v4, v[5:6] offset:104
	s_branch .LBB1_4
.LBB1_7:
	s_trap 2
	s_sendmsg_rtn_b32 s0, sendmsg(MSG_RTN_GET_DOORBELL)
	s_mov_b32 ttmp2, m0
	s_waitcnt lgkmcnt(0)
	s_and_b32 s0, s0, 0x3ff
	s_delay_alu instid0(SALU_CYCLE_1) | instskip(NEXT) | instid1(SALU_CYCLE_1)
	s_bitset1_b32 s0, 10
	s_mov_b32 m0, s0
	s_sendmsg sendmsg(MSG_INTERRUPT)
	s_mov_b32 m0, ttmp2
.LBB1_8:                                ; =>This Inner Loop Header: Depth=1
	s_sethalt 5
	s_branch .LBB1_8
.LBB1_9:
	s_or_b32 exec_lo, exec_lo, s0
	s_waitcnt lgkmcnt(0)
	s_waitcnt_vscnt null, 0x0
	s_barrier
	buffer_gl0_inv
	s_cbranch_execnz .LBB1_22
; %bb.10:
	ds_load_b32 v0, v0
	s_waitcnt lgkmcnt(0)
	v_cmp_gt_i32_e32 vcc_lo, 1, v0
	s_cbranch_vccnz .LBB1_21
; %bb.11:
	s_mov_b32 s34, 0
	s_mov_b64 s[28:29], src_shared_base
.LBB1_12:                               ; =>This Inner Loop Header: Depth=1
	s_cbranch_execnz .LBB1_26
; %bb.13:                               ;   in Loop: Header=BB1_12 Depth=1
	ds_load_b32 v0, v0
	s_cmp_eq_u32 s34, 0
	s_cbranch_scc1 .LBB1_17
; %bb.14:                               ;   in Loop: Header=BB1_12 Depth=1
	s_cbranch_execnz .LBB1_30
; %bb.15:                               ;   in Loop: Header=BB1_12 Depth=1
	s_waitcnt lgkmcnt(0)
	ds_load_b32 v1, v0
	s_waitcnt lgkmcnt(0)
	v_xor_b32_e32 v1, v1, v0
	s_delay_alu instid0(VALU_DEP_1) | instskip(NEXT) | instid1(VALU_DEP_1)
	v_and_b32_e32 v1, 0xff0000, v1
	v_cmp_eq_u32_e32 vcc_lo, 0, v1
	s_cbranch_vccnz .LBB1_17
; %bb.16:                               ;   in Loop: Header=BB1_12 Depth=1
	s_waitcnt_vscnt null, 0x0
	s_barrier
	buffer_gl0_inv
	ds_load_b32 v0, v0
.LBB1_17:                               ;   in Loop: Header=BB1_12 Depth=1
	s_waitcnt lgkmcnt(0)
	v_lshrrev_b32_e32 v0, 11, v0
	s_mov_b32 s35, exec_lo
	s_delay_alu instid0(VALU_DEP_1) | instskip(NEXT) | instid1(VALU_DEP_1)
	v_and_b32_e32 v1, 0x1fe0, v0
	v_cmpx_lt_u32_e64 v167, v1
	s_cbranch_execz .LBB1_19
; %bb.18:                               ;   in Loop: Header=BB1_12 Depth=1
	v_dual_mov_b32 v0, v167 :: v_dual_mov_b32 v3, s29
	s_getpc_b64 s[0:1]
	s_add_u32 s0, s0, _ZN12_GLOBAL__N_17runRingIm10FuncMinMaxImE7ProtoLLLi0ELi1ELi0EEEviiP15ncclDevWorkColl@rel32@lo+4
	s_addc_u32 s1, s1, _ZN12_GLOBAL__N_17runRingIm10FuncMinMaxImE7ProtoLLLi0ELi1ELi0EEEviiP15ncclDevWorkColl@rel32@hi+12
	s_mov_b64 s[26:27], s[8:9]
	s_mov_b32 s28, s12
	s_swappc_b64 s[30:31], s[0:1]
	s_mov_b32 s12, s28
	s_mov_b64 s[8:9], s[26:27]
.LBB1_19:                               ;   in Loop: Header=BB1_12 Depth=1
	s_or_b32 exec_lo, exec_lo, s35
	s_cbranch_execnz .LBB1_28
; %bb.20:                               ;   in Loop: Header=BB1_12 Depth=1
	ds_load_b32 v0, v0
	s_add_i32 s34, s34, 1
	s_waitcnt lgkmcnt(0)
	v_cmp_lt_i32_e32 vcc_lo, s34, v0
	s_cbranch_vccnz .LBB1_12
.LBB1_21:
	v_readlane_b32 s30, v40, 2
	v_readlane_b32 s31, v40, 3
	;; [unrolled: 1-line block ×5, first 2 shown]
	s_or_saveexec_b32 s1, -1
	scratch_load_b32 v40, off, s33          ; 4-byte Folded Reload
	s_mov_b32 exec_lo, s1
	s_add_i32 s32, s32, -16
	s_mov_b32 s33, s0
	s_waitcnt vmcnt(0)
	s_setpc_b64 s[30:31]
.LBB1_22:
	s_trap 2
	s_sendmsg_rtn_b32 s0, sendmsg(MSG_RTN_GET_DOORBELL)
	s_mov_b32 ttmp2, m0
	s_waitcnt lgkmcnt(0)
	s_and_b32 s0, s0, 0x3ff
	s_delay_alu instid0(SALU_CYCLE_1) | instskip(NEXT) | instid1(SALU_CYCLE_1)
	s_bitset1_b32 s0, 10
	s_mov_b32 m0, s0
	s_sendmsg sendmsg(MSG_INTERRUPT)
	s_mov_b32 m0, ttmp2
.LBB1_23:                               ; =>This Inner Loop Header: Depth=1
	s_sethalt 5
	s_branch .LBB1_23
.LBB1_24:
	s_trap 2
	s_sendmsg_rtn_b32 s0, sendmsg(MSG_RTN_GET_DOORBELL)
	s_mov_b32 ttmp2, m0
	s_waitcnt lgkmcnt(0)
	s_and_b32 s0, s0, 0x3ff
	s_delay_alu instid0(SALU_CYCLE_1) | instskip(NEXT) | instid1(SALU_CYCLE_1)
	s_bitset1_b32 s0, 10
	s_mov_b32 m0, s0
	s_sendmsg sendmsg(MSG_INTERRUPT)
	s_mov_b32 m0, ttmp2
.LBB1_25:                               ; =>This Inner Loop Header: Depth=1
	s_sethalt 5
	s_branch .LBB1_25
.LBB1_26:
	s_trap 2
	s_sendmsg_rtn_b32 s0, sendmsg(MSG_RTN_GET_DOORBELL)
	s_mov_b32 ttmp2, m0
	s_waitcnt lgkmcnt(0)
	s_and_b32 s0, s0, 0x3ff
	s_delay_alu instid0(SALU_CYCLE_1) | instskip(NEXT) | instid1(SALU_CYCLE_1)
	s_bitset1_b32 s0, 10
	s_mov_b32 m0, s0
	s_sendmsg sendmsg(MSG_INTERRUPT)
	s_mov_b32 m0, ttmp2
.LBB1_27:                               ; =>This Inner Loop Header: Depth=1
	s_sethalt 5
	s_branch .LBB1_27
.LBB1_28:
	s_trap 2
	s_sendmsg_rtn_b32 s0, sendmsg(MSG_RTN_GET_DOORBELL)
	s_mov_b32 ttmp2, m0
	s_waitcnt lgkmcnt(0)
	s_and_b32 s0, s0, 0x3ff
	s_delay_alu instid0(SALU_CYCLE_1) | instskip(NEXT) | instid1(SALU_CYCLE_1)
	s_bitset1_b32 s0, 10
	s_mov_b32 m0, s0
	s_sendmsg sendmsg(MSG_INTERRUPT)
	s_mov_b32 m0, ttmp2
.LBB1_29:                               ; =>This Inner Loop Header: Depth=1
	s_sethalt 5
	s_branch .LBB1_29
.LBB1_30:
	s_trap 2
	s_sendmsg_rtn_b32 s0, sendmsg(MSG_RTN_GET_DOORBELL)
	s_mov_b32 ttmp2, m0
	s_waitcnt lgkmcnt(0)
	s_and_b32 s0, s0, 0x3ff
	s_delay_alu instid0(SALU_CYCLE_1) | instskip(NEXT) | instid1(SALU_CYCLE_1)
	s_bitset1_b32 s0, 10
	s_mov_b32 m0, s0
	s_sendmsg sendmsg(MSG_INTERRUPT)
	s_mov_b32 m0, ttmp2
.LBB1_31:                               ; =>This Inner Loop Header: Depth=1
	s_sethalt 5
	s_branch .LBB1_31
.Lfunc_end1:
	.size	_Z50ncclDevFunc_ReduceScatter_RING_LL_MinMax_u64_0_0_1v, .Lfunc_end1-_Z50ncclDevFunc_ReduceScatter_RING_LL_MinMax_u64_0_0_1v
                                        ; -- End function
	.section	.AMDGPU.csdata,"",@progbits
; Function info:
; codeLenInByte = 944
; NumSgprs: 38
; NumVgprs: 168
; ScratchSize: 16
; MemoryBound: 0
	.text
	.p2align	2                               ; -- Begin function _ZN12_GLOBAL__N_17runRingIm10FuncMinMaxImE7ProtoLLLi0ELi2ELi0EEEviiP15ncclDevWorkColl
	.type	_ZN12_GLOBAL__N_17runRingIm10FuncMinMaxImE7ProtoLLLi0ELi2ELi0EEEviiP15ncclDevWorkColl,@function
_ZN12_GLOBAL__N_17runRingIm10FuncMinMaxImE7ProtoLLLi0ELi2ELi0EEEviiP15ncclDevWorkColl: ; @_ZN12_GLOBAL__N_17runRingIm10FuncMinMaxImE7ProtoLLLi0ELi2ELi0EEEviiP15ncclDevWorkColl
; %bb.0:
	s_waitcnt vmcnt(0) expcnt(0) lgkmcnt(0)
	s_cbranch_execnz .LBB2_15
; %bb.1:
	v_mov_b32_e32 v4, v0
	s_clause 0x2
	flat_load_b32 v0, v[2:3]
	flat_load_b128 v[5:8], v[2:3] offset:72
	flat_load_b64 v[19:20], v[2:3] offset:88
	s_mov_b32 s0, exec_lo
                                        ; implicit-def: $vgpr17_vgpr18
                                        ; implicit-def: $vgpr25_vgpr26
	s_waitcnt vmcnt(2) lgkmcnt(2)
	v_and_b32_e32 v11, 0xff, v0
	v_bfe_u32 v10, v0, 8, 8
	s_delay_alu instid0(VALU_DEP_2) | instskip(SKIP_3) | instid1(VALU_DEP_1)
	v_not_b32_e32 v0, v11
	ds_load_b32 v9, v0
	ds_load_b64 v[23:24], v0
	v_add_nc_u32_e32 v12, v10, v0
	v_ashrrev_i32_e32 v13, 31, v12
	s_waitcnt vmcnt(1) lgkmcnt(3)
	v_mul_lo_u32 v14, v8, v12
	v_mad_u64_u32 v[64:65], null, v7, v12, 0
	s_delay_alu instid0(VALU_DEP_3) | instskip(NEXT) | instid1(VALU_DEP_1)
	v_mul_lo_u32 v12, v7, v13
	v_add3_u32 v69, v65, v12, v14
	s_waitcnt lgkmcnt(1)
	v_readfirstlane_b32 s10, v9
	v_cmpx_ne_u32_e64 v11, v9
	s_xor_b32 s0, exec_lo, s0
	s_cbranch_execz .LBB2_7
; %bb.2:
	s_mov_b32 s1, exec_lo
                                        ; implicit-def: $vgpr17_vgpr18
                                        ; implicit-def: $vgpr25_vgpr26
	v_cmpx_ne_u32_e64 v10, v9
	s_xor_b32 s1, exec_lo, s1
	s_cbranch_execz .LBB2_4
; %bb.3:
	flat_load_b64 v[10:11], v[2:3] offset:96
	v_add_nc_u32_e32 v0, v9, v0
	s_delay_alu instid0(VALU_DEP_1) | instskip(SKIP_2) | instid1(VALU_DEP_3)
	v_ashrrev_i32_e32 v9, 31, v0
	v_mul_lo_u32 v12, v8, v0
	v_mad_u64_u32 v[25:26], null, v7, v0, v[5:6]
	v_mul_lo_u32 v9, v7, v9
	s_delay_alu instid0(VALU_DEP_1)
	v_add3_u32 v26, v12, v26, v9
	s_waitcnt vmcnt(0) lgkmcnt(0)
	v_lshrrev_b64 v[17:18], 20, v[10:11]
.LBB2_4:
	s_and_not1_saveexec_b32 s1, s1
	s_cbranch_execz .LBB2_6
; %bb.5:
	flat_load_b32 v0, v[2:3] offset:100
	v_add_co_u32 v25, vcc_lo, v64, v5
	v_add_co_ci_u32_e32 v26, vcc_lo, v69, v6, vcc_lo
	s_waitcnt vmcnt(1)
	v_dual_mov_b32 v7, v19 :: v_dual_mov_b32 v8, v20
	s_waitcnt vmcnt(0) lgkmcnt(0)
	v_lshrrev_b32_e32 v17, 9, v0
.LBB2_6:
	s_or_b32 exec_lo, exec_lo, s1
.LBB2_7:
	s_and_not1_saveexec_b32 s0, s0
	s_cbranch_execz .LBB2_9
; %bb.8:
	flat_load_b64 v[7:8], v[2:3] offset:96
	v_mov_b32_e32 v25, 0
	v_mov_b32_e32 v26, 0
	s_waitcnt vmcnt(0) lgkmcnt(0)
	v_lshlrev_b64 v[17:18], 1, v[7:8]
	v_dual_mov_b32 v8, v6 :: v_dual_mov_b32 v7, v5
.LBB2_9:
	s_or_b32 exec_lo, exec_lo, s0
	s_load_b32 s0, s[8:9], 0x0
	v_mov_b32_e32 v0, 0
	flat_load_b64 v[27:28], v[2:3] offset:104
	s_mov_b32 s2, 0
	s_waitcnt lgkmcnt(0)
	s_cmp_lt_u32 s12, s0
	s_cselect_b32 s0, 12, 18
	s_delay_alu instid0(SALU_CYCLE_1)
	s_add_u32 s0, s8, s0
	s_addc_u32 s1, s9, 0
	s_clause 0x2
	flat_load_b128 v[9:12], v[2:3] offset:16
	flat_load_u16 v14, v[2:3] offset:8
	flat_load_b32 v13, v[2:3] offset:4
	global_load_u16 v0, v0, s[0:1]
	s_cbranch_execnz .LBB2_17
; %bb.10:
	s_waitcnt vmcnt(0)
	ds_load_b32 v2, v0
	s_waitcnt lgkmcnt(1)
	v_lshrrev_b64 v[13:14], 31, v[13:14]
	s_delay_alu instid0(VALU_DEP_1)
	v_and_b32_e32 v14, 3, v13
	v_and_b32_e32 v13, 31, v4
	s_waitcnt lgkmcnt(0)
	v_cmp_gt_i32_e32 vcc_lo, 0, v2
	v_readfirstlane_b32 s1, v2
	s_cbranch_vccnz .LBB2_19
; %bb.11:
	v_cmp_eq_u32_e32 vcc_lo, 0, v13
	s_cbranch_execnz .LBB2_23
; %bb.12:
	ds_load_b64 v[15:16], v0
	v_dual_mov_b32 v3, 0 :: v_dual_and_b32 v18, 0xffff, v14
	s_mov_b32 s2, 1
	s_delay_alu instid0(VALU_DEP_1) | instskip(SKIP_1) | instid1(VALU_DEP_1)
	v_lshlrev_b64 v[2:3], 3, v[2:3]
	s_waitcnt lgkmcnt(0)
	v_add_co_u32 v2, s0, v15, v2
	s_delay_alu instid0(VALU_DEP_1)
	v_add_co_ci_u32_e64 v3, s0, v16, v3, s0
	flat_load_b64 v[2:3], v[2:3]
	s_waitcnt vmcnt(0) lgkmcnt(0)
	v_mad_u64_u32 v[15:16], null, 0xa8, v18, v[2:3]
	s_clause 0x1
	flat_load_b64 v[32:33], v[15:16] offset:504
	flat_load_b64 v[34:35], v[15:16] offset:608
	v_add_co_u32 v2, s0, 0x1f8, v15
	s_delay_alu instid0(VALU_DEP_1) | instskip(NEXT) | instid1(VALU_DEP_1)
	v_add_co_ci_u32_e64 v3, s0, 0, v16, s0
	v_dual_cndmask_b32 v29, 0, v2 :: v_dual_cndmask_b32 v30, 0, v3
	s_cbranch_execz .LBB2_20
.LBB2_13:
	s_trap 2
	s_sendmsg_rtn_b32 s0, sendmsg(MSG_RTN_GET_DOORBELL)
	s_mov_b32 ttmp2, m0
	s_waitcnt lgkmcnt(0)
	s_and_b32 s0, s0, 0x3ff
	s_delay_alu instid0(SALU_CYCLE_1) | instskip(NEXT) | instid1(SALU_CYCLE_1)
	s_bitset1_b32 s0, 10
	s_mov_b32 m0, s0
	s_sendmsg sendmsg(MSG_INTERRUPT)
	s_mov_b32 m0, ttmp2
.LBB2_14:                               ; =>This Inner Loop Header: Depth=1
	s_sethalt 5
	s_branch .LBB2_14
.LBB2_15:
	s_trap 2
	s_sendmsg_rtn_b32 s0, sendmsg(MSG_RTN_GET_DOORBELL)
	s_mov_b32 ttmp2, m0
	s_waitcnt lgkmcnt(0)
	s_and_b32 s0, s0, 0x3ff
	s_delay_alu instid0(SALU_CYCLE_1) | instskip(NEXT) | instid1(SALU_CYCLE_1)
	s_bitset1_b32 s0, 10
	s_mov_b32 m0, s0
	s_sendmsg sendmsg(MSG_INTERRUPT)
	s_mov_b32 m0, ttmp2
.LBB2_16:                               ; =>This Inner Loop Header: Depth=1
	s_sethalt 5
	s_branch .LBB2_16
.LBB2_17:
	s_trap 2
	s_sendmsg_rtn_b32 s0, sendmsg(MSG_RTN_GET_DOORBELL)
	s_mov_b32 ttmp2, m0
	s_waitcnt lgkmcnt(0)
	s_and_b32 s0, s0, 0x3ff
	s_delay_alu instid0(SALU_CYCLE_1) | instskip(NEXT) | instid1(SALU_CYCLE_1)
	s_bitset1_b32 s0, 10
	s_mov_b32 m0, s0
	s_sendmsg sendmsg(MSG_INTERRUPT)
	s_mov_b32 m0, ttmp2
.LBB2_18:                               ; =>This Inner Loop Header: Depth=1
	s_sethalt 5
	s_branch .LBB2_18
.LBB2_19:
	v_mov_b32_e32 v29, 0
	v_mov_b32_e32 v30, 0
                                        ; implicit-def: $vgpr34_vgpr35
                                        ; implicit-def: $vgpr32_vgpr33
	s_cbranch_execnz .LBB2_13
.LBB2_20:
	ds_load_b32 v2, v0
	v_mov_b32_e32 v38, 0
	v_mov_b32_e32 v39, 0
	s_waitcnt lgkmcnt(0)
	v_cmp_gt_i32_e32 vcc_lo, 0, v2
	s_cbranch_vccnz .LBB2_25
; %bb.21:
	s_cbranch_execnz .LBB2_227
; %bb.22:
	ds_load_b64 v[15:16], v0
	v_mov_b32_e32 v3, 0
	s_delay_alu instid0(VALU_DEP_1) | instskip(SKIP_1) | instid1(VALU_DEP_1)
	v_lshlrev_b64 v[2:3], 3, v[2:3]
	s_waitcnt lgkmcnt(0)
	v_add_co_u32 v2, vcc_lo, v15, v2
	s_delay_alu instid0(VALU_DEP_2)
	v_add_co_ci_u32_e32 v3, vcc_lo, v16, v3, vcc_lo
	v_and_b32_e32 v16, 0xffff, v14
	v_cmp_eq_u32_e32 vcc_lo, 0, v13
	flat_load_b64 v[2:3], v[2:3]
	s_waitcnt vmcnt(0) lgkmcnt(0)
	v_mad_u64_u32 v[14:15], null, 0xa8, v16, v[2:3]
	s_clause 0x1
	flat_load_b64 v[48:49], v[14:15]
	flat_load_b64 v[21:22], v[14:15] offset:104
	v_dual_cndmask_b32 v37, 0, v15 :: v_dual_cndmask_b32 v36, 0, v14
	s_branch .LBB2_26
.LBB2_23:
	s_trap 2
	s_sendmsg_rtn_b32 s0, sendmsg(MSG_RTN_GET_DOORBELL)
	s_mov_b32 ttmp2, m0
	s_waitcnt lgkmcnt(0)
	s_and_b32 s0, s0, 0x3ff
	s_delay_alu instid0(SALU_CYCLE_1) | instskip(NEXT) | instid1(SALU_CYCLE_1)
	s_bitset1_b32 s0, 10
	s_mov_b32 m0, s0
	s_sendmsg sendmsg(MSG_INTERRUPT)
	s_mov_b32 m0, ttmp2
.LBB2_24:                               ; =>This Inner Loop Header: Depth=1
	s_sethalt 5
	s_branch .LBB2_24
.LBB2_25:
	s_delay_alu instid0(VALU_DEP_2)
	v_dual_mov_b32 v36, v38 :: v_dual_mov_b32 v37, v39
                                        ; implicit-def: $vgpr21_vgpr22
                                        ; implicit-def: $vgpr48_vgpr49
.LBB2_26:
	v_subrev_nc_u32_e32 v2, 32, v1
	v_cmp_gt_u32_e64 s0, s2, v13
                                        ; implicit-def: $vgpr50_vgpr51
	s_delay_alu instid0(VALU_DEP_2) | instskip(NEXT) | instid1(VALU_DEP_2)
	v_cmp_le_i32_e32 vcc_lo, v2, v4
	s_and_b32 s12, vcc_lo, s0
	s_delay_alu instid0(SALU_CYCLE_1)
	s_and_saveexec_b32 s0, s12
; %bb.27:
	s_clause 0x1
	flat_load_b64 v[38:39], v[29:30] offset:56
	flat_load_b64 v[50:51], v[29:30] offset:104
; %bb.28:
	s_or_b32 exec_lo, exec_lo, s0
	v_mov_b32_e32 v2, 0
	v_mov_b32_e32 v3, 0
	v_cmp_gt_i32_e64 s0, s2, v4
                                        ; implicit-def: $vgpr54_vgpr55
	s_delay_alu instid0(VALU_DEP_2) | instskip(SKIP_1) | instid1(VALU_DEP_3)
	v_dual_mov_b32 v14, v3 :: v_dual_mov_b32 v13, v2
	v_dual_mov_b32 v53, v3 :: v_dual_mov_b32 v52, v2
	s_and_saveexec_b32 s2, s0
	s_cbranch_execz .LBB2_30
; %bb.29:
	flat_load_b64 v[52:53], v[36:37] offset:56
	s_waitcnt vmcnt(0) lgkmcnt(0)
	flat_load_b64 v[54:55], v[52:53] glc dlc
	s_waitcnt vmcnt(0)
	flat_load_b128 v[13:16], v[36:37] offset:96
.LBB2_30:
	s_or_b32 exec_lo, exec_lo, s2
	v_and_b32_e32 v0, 0xffff, v0
	s_mov_b32 s13, exec_lo
	v_cmpx_ne_u64_e32 0, v[7:8]
	s_cbranch_execz .LBB2_215
; %bb.31:
	v_add_co_u32 v2, vcc_lo, v19, v5
	s_ashr_i32 s2, s1, 31
	v_add_co_ci_u32_e32 v3, vcc_lo, v20, v6, vcc_lo
	s_lshr_b32 s2, s2, 29
	s_ashr_i32 s11, s10, 31
	v_add_co_u32 v68, vcc_lo, v2, v64
	s_add_i32 s1, s1, s2
	s_lshl_b64 s[2:3], s[10:11], 2
	v_add_co_ci_u32_e32 v69, vcc_lo, v3, v69, vcc_lo
	v_add_co_u32 v3, vcc_lo, v23, s2
	v_add_co_ci_u32_e32 v5, vcc_lo, s3, v24, vcc_lo
	v_ashrrev_i32_e32 v2, 31, v1
	s_delay_alu instid0(VALU_DEP_3) | instskip(NEXT) | instid1(VALU_DEP_3)
	v_add_co_u32 v70, vcc_lo, v3, -4
	v_add_co_ci_u32_e32 v71, vcc_lo, -1, v5, vcc_lo
	v_ashrrev_i32_e32 v5, 31, v4
	s_delay_alu instid0(VALU_DEP_4) | instskip(SKIP_2) | instid1(VALU_DEP_4)
	v_lshrrev_b32_e32 v6, 27, v2
	v_dual_mov_b32 v65, 0 :: v_dual_and_b32 v66, 0x3ffffe, v17
	v_and_b32_e32 v64, 7, v9
	v_lshlrev_b64 v[80:81], 3, v[4:5]
	s_delay_alu instid0(VALU_DEP_4)
	v_dual_mov_b32 v84, 0 :: v_dual_add_nc_u32 v3, v1, v6
	v_lshlrev_b64 v[18:19], 3, v[25:26]
	v_mov_b32_e32 v85, 0
	v_dual_mov_b32 v67, v65 :: v_dual_and_b32 v6, 31, v31
	v_add_co_u32 v128, vcc_lo, v11, v80
	v_add_co_ci_u32_e32 v129, vcc_lo, v12, v81, vcc_lo
	v_add_co_u32 v130, vcc_lo, v9, v80
	v_add_co_ci_u32_e32 v131, vcc_lo, v10, v81, vcc_lo
	v_cmp_eq_u64_e32 vcc_lo, 0, v[64:65]
	v_ashrrev_i32_e32 v118, 5, v3
	v_cmp_eq_u32_e64 s5, 0, v6
	s_ashr_i32 s14, s1, 7
	v_cmp_ne_u64_e64 s1, 0, v[52:53]
	s_waitcnt vmcnt(0) lgkmcnt(0)
	v_cmp_ne_u64_e64 s2, 0, v[13:14]
	v_cndmask_b32_e64 v132, 0, 1, vcc_lo
	v_add_co_u32 v3, vcc_lo, v18, v80
	v_add_co_ci_u32_e32 v6, vcc_lo, v19, v81, vcc_lo
	v_dual_mov_b32 v144, 1 :: v_dual_lshlrev_b32 v19, 3, v17
	v_lshlrev_b64 v[17:18], 4, v[4:5]
	s_delay_alu instid0(VALU_DEP_4) | instskip(NEXT) | instid1(VALU_DEP_4)
	v_add_co_u32 v9, vcc_lo, v11, v3
	v_add_co_ci_u32_e32 v10, vcc_lo, v12, v6, vcc_lo
	v_cmp_ne_u64_e64 s6, 0, v[38:39]
	s_delay_alu instid0(VALU_DEP_4)
	v_add_co_u32 v134, vcc_lo, v48, v17
	v_and_b32_e32 v133, 0x1fffff0, v19
	v_lshlrev_b64 v[5:6], 3, v[68:69]
	v_lshlrev_b64 v[82:83], 3, v[1:2]
	;; [unrolled: 1-line block ×3, first 2 shown]
	v_mov_b32_e32 v2, v84
	v_cmp_ne_u32_e64 s3, 32, v1
	v_cmp_ne_u32_e64 s4, v0, v1
	v_ashrrev_i32_e32 v119, 31, v118
	v_add_co_ci_u32_e32 v135, vcc_lo, v49, v18, vcc_lo
	v_mov_b32_e32 v145, 0
	v_mov_b32_e32 v3, v85
	s_cmp_gt_i32 s10, 2
	s_mov_b32 s11, 0
	s_cselect_b32 s15, -1, 0
.LBB2_32:                               ; =>This Loop Header: Depth=1
                                        ;     Child Loop BB2_39 Depth 2
                                        ;     Child Loop BB2_59 Depth 2
                                        ;     Child Loop BB2_74 Depth 2
                                        ;     Child Loop BB2_78 Depth 2
                                        ;     Child Loop BB2_81 Depth 2
                                        ;       Child Loop BB2_88 Depth 3
                                        ;       Child Loop BB2_108 Depth 3
	;; [unrolled: 1-line block ×3, first 2 shown]
                                        ;         Child Loop BB2_130 Depth 4
                                        ;       Child Loop BB2_148 Depth 3
                                        ;       Child Loop BB2_165 Depth 3
                                        ;     Child Loop BB2_170 Depth 2
                                        ;       Child Loop BB2_174 Depth 3
                                        ;     Child Loop BB2_198 Depth 2
	s_waitcnt vmcnt(0) lgkmcnt(0)
	flat_load_b32 v19, v[70:71]
	v_sub_co_u32 v17, vcc_lo, v7, v84
	v_sub_co_ci_u32_e32 v18, vcc_lo, v8, v85, vcc_lo
	s_delay_alu instid0(VALU_DEP_1)
	v_cmp_lt_u64_e32 vcc_lo, v[66:67], v[17:18]
	v_cndmask_b32_e32 v146, v17, v66, vcc_lo
	s_and_saveexec_b32 s7, s1
	s_cbranch_execz .LBB2_50
; %bb.33:                               ;   in Loop: Header=BB2_32 Depth=1
	v_add_co_u32 v17, vcc_lo, v15, 1
	v_add_co_ci_u32_e32 v18, vcc_lo, 0, v16, vcc_lo
	v_add_co_u32 v96, vcc_lo, v54, 8
	v_add_co_ci_u32_e32 v97, vcc_lo, 0, v55, vcc_lo
	s_mov_b32 s8, exec_lo
	s_delay_alu instid0(VALU_DEP_1)
	v_cmpx_lt_u64_e64 v[96:97], v[17:18]
	s_cbranch_execz .LBB2_47
; %bb.34:                               ;   in Loop: Header=BB2_32 Depth=1
	s_sleep 1
	flat_load_b64 v[54:55], v[52:53] glc
	v_cmp_eq_u32_e32 vcc_lo, 0, v145
	s_and_saveexec_b32 s9, vcc_lo
	s_cbranch_execz .LBB2_46
; %bb.35:                               ;   in Loop: Header=BB2_32 Depth=1
	v_cndmask_b32_e64 v16, 0, 1, vcc_lo
	s_mov_b32 s16, 0
                                        ; implicit-def: $sgpr17
	s_branch .LBB2_39
.LBB2_36:                               ;   in Loop: Header=BB2_39 Depth=2
	s_or_b32 exec_lo, exec_lo, s20
	s_delay_alu instid0(SALU_CYCLE_1)
	s_or_not1_b32 s20, s21, exec_lo
.LBB2_37:                               ;   in Loop: Header=BB2_39 Depth=2
	s_or_b32 exec_lo, exec_lo, s19
	s_xor_b32 s19, s20, -1
	s_and_not1_b32 s17, s17, exec_lo
	s_and_b32 s19, s19, exec_lo
	s_delay_alu instid0(SALU_CYCLE_1)
	s_or_b32 s17, s17, s19
.LBB2_38:                               ;   in Loop: Header=BB2_39 Depth=2
	s_or_b32 exec_lo, exec_lo, s18
	s_delay_alu instid0(SALU_CYCLE_1) | instskip(NEXT) | instid1(SALU_CYCLE_1)
	s_and_b32 s18, exec_lo, s17
	s_or_b32 s16, s18, s16
	s_delay_alu instid0(SALU_CYCLE_1)
	s_and_not1_b32 exec_lo, exec_lo, s16
	s_cbranch_execz .LBB2_45
.LBB2_39:                               ;   Parent Loop BB2_32 Depth=1
                                        ; =>  This Inner Loop Header: Depth=2
	s_waitcnt vmcnt(0) lgkmcnt(0)
	v_add_co_u32 v96, vcc_lo, v54, 8
	v_add_co_ci_u32_e32 v97, vcc_lo, 0, v55, vcc_lo
	v_mov_b32_e32 v145, 0
	s_or_b32 s17, s17, exec_lo
	s_mov_b32 s18, exec_lo
	s_delay_alu instid0(VALU_DEP_2)
	v_cmpx_lt_u64_e64 v[96:97], v[17:18]
	s_cbranch_execz .LBB2_38
; %bb.40:                               ;   in Loop: Header=BB2_39 Depth=2
	s_sleep 1
	flat_load_b64 v[54:55], v[52:53] glc
	v_dual_mov_b32 v145, 0 :: v_dual_add_nc_u32 v16, 1, v16
	s_mov_b32 s20, -1
	s_mov_b32 s19, exec_lo
	s_delay_alu instid0(VALU_DEP_1)
	v_cmpx_eq_u32_e32 0x2710, v16
	s_cbranch_execz .LBB2_37
; %bb.41:                               ;   in Loop: Header=BB2_39 Depth=2
	s_cbranch_execnz .LBB2_233
; %bb.42:                               ;   in Loop: Header=BB2_39 Depth=2
	ds_load_b64 v[96:97], v0
	v_dual_mov_b32 v16, 0 :: v_dual_mov_b32 v145, 0
	s_mov_b32 s21, -1
	s_mov_b32 s20, exec_lo
	s_waitcnt vmcnt(0) lgkmcnt(0)
	s_waitcnt_vscnt null, 0x0
	flat_load_b32 v20, v[96:97] glc
	s_waitcnt vmcnt(0) lgkmcnt(0)
	buffer_gl1_inv
	buffer_gl0_inv
	v_cmpx_ne_u32_e32 0, v20
	s_cbranch_execz .LBB2_36
; %bb.43:                               ;   in Loop: Header=BB2_39 Depth=2
	ds_store_b32 v0, v20
	s_cbranch_execnz .LBB2_258
; %bb.44:                               ;   in Loop: Header=BB2_39 Depth=2
	v_mov_b32_e32 v145, 1
	s_xor_b32 s21, exec_lo, -1
	s_branch .LBB2_36
.LBB2_45:                               ;   in Loop: Header=BB2_32 Depth=1
	s_or_b32 exec_lo, exec_lo, s16
.LBB2_46:                               ;   in Loop: Header=BB2_32 Depth=1
	s_delay_alu instid0(SALU_CYCLE_1)
	s_or_b32 exec_lo, exec_lo, s9
.LBB2_47:                               ;   in Loop: Header=BB2_32 Depth=1
	s_delay_alu instid0(SALU_CYCLE_1)
	s_or_b32 exec_lo, exec_lo, s8
	s_and_saveexec_b32 s8, s2
	s_cbranch_execz .LBB2_49
; %bb.48:                               ;   in Loop: Header=BB2_32 Depth=1
	v_and_b32_e32 v64, 0x7ffffff8, v15
	v_and_b32_e32 v20, 7, v15
	s_delay_alu instid0(VALU_DEP_2) | instskip(NEXT) | instid1(VALU_DEP_2)
	v_cmp_eq_u64_e32 vcc_lo, 0x7ffffff8, v[64:65]
	v_mad_u64_u32 v[96:97], null, v20, 24, v[13:14]
	v_cndmask_b32_e64 v16, v146, s14, vcc_lo
	s_delay_alu instid0(VALU_DEP_1) | instskip(NEXT) | instid1(VALU_DEP_1)
	v_lshlrev_b32_e32 v15, 4, v16
	v_ashrrev_i32_e32 v16, 31, v15
	flat_store_b64 v[96:97], v[15:16] offset:8 dlc
	s_waitcnt_vscnt null, 0x0
.LBB2_49:                               ;   in Loop: Header=BB2_32 Depth=1
	s_or_b32 exec_lo, exec_lo, s8
	v_dual_mov_b32 v15, v17 :: v_dual_mov_b32 v16, v18
.LBB2_50:                               ;   in Loop: Header=BB2_32 Depth=1
	s_or_b32 exec_lo, exec_lo, s7
	s_and_saveexec_b32 s7, s3
	s_cbranch_execz .LBB2_72
; %bb.51:                               ;   in Loop: Header=BB2_32 Depth=1
	s_and_saveexec_b32 s8, s4
	s_delay_alu instid0(SALU_CYCLE_1)
	s_xor_b32 s8, exec_lo, s8
	s_cbranch_execz .LBB2_69
; %bb.52:                               ;   in Loop: Header=BB2_32 Depth=1
	s_and_saveexec_b32 s9, s5
	s_cbranch_execz .LBB2_68
; %bb.53:                               ;   in Loop: Header=BB2_32 Depth=1
	s_mov_b32 s17, exec_lo
	s_mov_b32 s16, exec_lo
	v_mbcnt_lo_u32_b32 v17, s17, 0
	s_waitcnt vmcnt(0) lgkmcnt(0)
	s_waitcnt_vscnt null, 0x0
	buffer_gl1_inv
	buffer_gl0_inv
	v_cmpx_eq_u32_e32 0, v17
	s_cbranch_execz .LBB2_55
; %bb.54:                               ;   in Loop: Header=BB2_32 Depth=1
	s_bcnt1_i32_b32 s17, s17
	s_delay_alu instid0(SALU_CYCLE_1)
	v_mov_b32_e32 v64, s17
	ds_add_u64 v0, v[64:65]
	s_cbranch_execnz .LBB2_252
.LBB2_55:                               ;   in Loop: Header=BB2_32 Depth=1
	s_or_b32 exec_lo, exec_lo, s16
	s_cbranch_execnz .LBB2_239
; %bb.56:                               ;   in Loop: Header=BB2_32 Depth=1
	ds_load_b64 v[17:18], v0
	v_add_co_u32 v2, vcc_lo, v2, v118
	v_add_co_ci_u32_e32 v3, vcc_lo, v3, v119, vcc_lo
	s_mov_b32 s16, exec_lo
	s_waitcnt lgkmcnt(0)
	s_delay_alu instid0(VALU_DEP_1)
	v_cmpx_lt_u64_e64 v[17:18], v[2:3]
	s_cbranch_execz .LBB2_67
; %bb.57:                               ;   in Loop: Header=BB2_32 Depth=1
	s_mov_b32 s17, 0
	s_mov_b32 s20, 0
                                        ; implicit-def: $sgpr18
                                        ; implicit-def: $sgpr19
	s_branch .LBB2_59
.LBB2_58:                               ;   in Loop: Header=BB2_59 Depth=2
	s_or_b32 exec_lo, exec_lo, s23
	s_delay_alu instid0(SALU_CYCLE_1) | instskip(NEXT) | instid1(SALU_CYCLE_1)
	s_and_b32 s21, exec_lo, s22
	s_or_b32 s17, s21, s17
	s_and_not1_b32 s18, s18, exec_lo
	s_and_b32 s21, s19, exec_lo
	s_delay_alu instid0(SALU_CYCLE_1)
	s_or_b32 s18, s18, s21
	s_and_not1_b32 exec_lo, exec_lo, s17
	s_cbranch_execz .LBB2_65
.LBB2_59:                               ;   Parent Loop BB2_32 Depth=1
                                        ; =>  This Inner Loop Header: Depth=2
	s_add_i32 s20, s20, 1
                                        ; implicit-def: $sgpr22
	s_delay_alu instid0(SALU_CYCLE_1) | instskip(SKIP_1) | instid1(SALU_CYCLE_1)
	s_cmpk_lg_i32 s20, 0x2710
	s_cselect_b32 s21, -1, 0
	s_and_b32 vcc_lo, exec_lo, s21
	s_cbranch_vccz .LBB2_63
.LBB2_60:                               ;   in Loop: Header=BB2_59 Depth=2
	s_and_not1_b32 s19, s19, exec_lo
	s_and_b32 s23, s22, exec_lo
	s_mov_b32 s22, -1
	s_or_b32 s19, s19, s23
	s_and_saveexec_b32 s23, s21
	s_cbranch_execz .LBB2_58
; %bb.61:                               ;   in Loop: Header=BB2_59 Depth=2
	s_sleep 1
	s_cbranch_execnz .LBB2_266
; %bb.62:                               ;   in Loop: Header=BB2_59 Depth=2
	ds_load_b64 v[17:18], v0
	s_and_not1_b32 s19, s19, exec_lo
	s_waitcnt lgkmcnt(0)
	v_cmp_ge_u64_e32 vcc_lo, v[17:18], v[2:3]
	s_or_not1_b32 s22, vcc_lo, exec_lo
	s_branch .LBB2_58
.LBB2_63:                               ;   in Loop: Header=BB2_59 Depth=2
	s_cbranch_execnz .LBB2_274
; %bb.64:                               ;   in Loop: Header=BB2_59 Depth=2
	ds_load_b64 v[17:18], v0
	s_and_not1_b32 s21, s21, exec_lo
	s_mov_b32 s20, 0
	s_mov_b32 s22, -1
	s_waitcnt lgkmcnt(0)
	flat_load_b32 v17, v[17:18] glc
	s_waitcnt vmcnt(0) lgkmcnt(0)
	buffer_gl1_inv
	buffer_gl0_inv
	v_cmp_eq_u32_e32 vcc_lo, 0, v17
	s_and_b32 s23, vcc_lo, exec_lo
	s_delay_alu instid0(SALU_CYCLE_1)
	s_or_b32 s21, s21, s23
	s_branch .LBB2_60
.LBB2_65:                               ;   in Loop: Header=BB2_32 Depth=1
	s_or_b32 exec_lo, exec_lo, s17
	s_and_saveexec_b32 s17, s18
	s_delay_alu instid0(SALU_CYCLE_1)
	s_xor_b32 s17, exec_lo, s17
	s_cbranch_execz .LBB2_67
; %bb.66:                               ;   in Loop: Header=BB2_32 Depth=1
	ds_store_b32 v0, v144
	s_cbranch_execnz .LBB2_299
.LBB2_67:                               ;   in Loop: Header=BB2_32 Depth=1
	s_or_b32 exec_lo, exec_lo, s16
	;;#ASMSTART
	s_wakeup
	;;#ASMEND
.LBB2_68:                               ;   in Loop: Header=BB2_32 Depth=1
	s_or_b32 exec_lo, exec_lo, s9
.LBB2_69:                               ;   in Loop: Header=BB2_32 Depth=1
	s_and_not1_saveexec_b32 s8, s8
	s_cbranch_execz .LBB2_71
; %bb.70:                               ;   in Loop: Header=BB2_32 Depth=1
	s_waitcnt vmcnt(0) lgkmcnt(0)
	s_waitcnt_vscnt null, 0x0
	buffer_gl1_inv
	buffer_gl0_inv
	s_barrier
.LBB2_71:                               ;   in Loop: Header=BB2_32 Depth=1
	s_or_b32 exec_lo, exec_lo, s8
.LBB2_72:                               ;   in Loop: Header=BB2_32 Depth=1
	s_delay_alu instid0(SALU_CYCLE_1) | instskip(SKIP_2) | instid1(VALU_DEP_2)
	s_or_b32 exec_lo, exec_lo, s7
	v_sub_nc_u32_e32 v147, v146, v4
	v_mov_b32_e32 v96, v4
	v_cmp_lt_i32_e64 s7, 0, v147
	s_delay_alu instid0(VALU_DEP_1)
	s_and_saveexec_b32 s9, s7
	s_cbranch_execz .LBB2_76
; %bb.73:                               ;   in Loop: Header=BB2_32 Depth=1
	v_dual_mov_b32 v100, v21 :: v_dual_and_b32 v17, 7, v21
	s_waitcnt vmcnt(0) lgkmcnt(0)
	v_ashrrev_i32_e32 v20, 31, v19
	v_mad_u64_u32 v[97:98], null, v5, v19, v[9:10]
	s_delay_alu instid0(VALU_DEP_3) | instskip(SKIP_1) | instid1(VALU_DEP_4)
	v_mul_lo_u32 v17, v17, s14
	v_mul_lo_u32 v96, v6, v19
	;; [unrolled: 1-line block ×3, first 2 shown]
	v_add_co_u32 v101, vcc_lo, 0, 0
	v_mov_b32_e32 v64, v147
	s_mov_b32 s16, 0
	v_ashrrev_i32_e32 v18, 31, v17
	s_delay_alu instid0(VALU_DEP_4) | instskip(SKIP_1) | instid1(VALU_DEP_3)
	v_add3_u32 v98, v96, v98, v99
	v_mov_b32_e32 v96, v4
	v_lshlrev_b64 v[19:20], 4, v[17:18]
	v_add_co_ci_u32_e32 v18, vcc_lo, 1, v100, vcc_lo
	s_delay_alu instid0(VALU_DEP_2) | instskip(NEXT) | instid1(VALU_DEP_3)
	v_add_co_u32 v99, vcc_lo, v134, v19
	v_add_co_ci_u32_e32 v100, vcc_lo, v135, v20, vcc_lo
	.p2align	6
.LBB2_74:                               ;   Parent Loop BB2_32 Depth=1
                                        ; =>  This Inner Loop Header: Depth=2
	flat_load_b64 v[102:103], v[97:98] glc
	v_mov_b32_e32 v20, v18
	v_sub_nc_u32_e32 v64, v64, v1
	v_add_co_u32 v97, vcc_lo, v97, v82
	v_add_co_ci_u32_e32 v98, vcc_lo, v98, v83, vcc_lo
	s_delay_alu instid0(VALU_DEP_3)
	v_cmp_gt_i32_e32 vcc_lo, 1, v64
	v_add_nc_u32_e32 v96, v96, v1
	s_or_b32 s16, vcc_lo, s16
	s_waitcnt vmcnt(0) lgkmcnt(0)
	v_mov_b32_e32 v19, v103
	v_or_b32_e32 v17, v102, v101
	s_delay_alu instid0(VALU_DEP_2) | instskip(SKIP_2) | instid1(VALU_DEP_1)
	v_or_b32_e32 v19, v19, v101
	global_store_b128 v[99:100], v[17:20], off
	v_add_co_u32 v99, s8, v99, v86
	v_add_co_ci_u32_e64 v100, s8, v100, v87, s8
	s_and_not1_b32 exec_lo, exec_lo, s16
	s_cbranch_execnz .LBB2_74
; %bb.75:                               ;   in Loop: Header=BB2_32 Depth=1
	s_or_b32 exec_lo, exec_lo, s16
.LBB2_76:                               ;   in Loop: Header=BB2_32 Depth=1
	s_delay_alu instid0(SALU_CYCLE_1) | instskip(SKIP_2) | instid1(VALU_DEP_2)
	s_or_b32 exec_lo, exec_lo, s9
	v_and_b32_e32 v64, 0x7ffffff8, v21
	v_cmp_gt_i32_e64 s8, s14, v96
	v_cmp_eq_u64_e32 vcc_lo, 0x7ffffff8, v[64:65]
	s_delay_alu instid0(VALU_DEP_2) | instskip(NEXT) | instid1(SALU_CYCLE_1)
	s_and_b32 s8, vcc_lo, s8
	s_and_saveexec_b32 s9, s8
	s_cbranch_execz .LBB2_79
; %bb.77:                               ;   in Loop: Header=BB2_32 Depth=1
	v_dual_mov_b32 v64, v21 :: v_dual_and_b32 v17, 7, v21
	v_ashrrev_i32_e32 v97, 31, v96
	s_mov_b32 s16, 0
	s_delay_alu instid0(VALU_DEP_2) | instskip(SKIP_1) | instid1(VALU_DEP_2)
	v_mul_lo_u32 v17, v17, s14
	s_waitcnt vmcnt(0) lgkmcnt(0)
	v_lshlrev_b64 v[19:20], 4, v[96:97]
	s_delay_alu instid0(VALU_DEP_2) | instskip(NEXT) | instid1(VALU_DEP_1)
	v_ashrrev_i32_e32 v18, 31, v17
	v_lshlrev_b64 v[17:18], 4, v[17:18]
	s_delay_alu instid0(VALU_DEP_1) | instskip(NEXT) | instid1(VALU_DEP_2)
	v_add_co_u32 v19, vcc_lo, v19, v17
	v_add_co_ci_u32_e32 v20, vcc_lo, v20, v18, vcc_lo
	v_add_co_u32 v17, vcc_lo, 0, 0
	v_add_co_ci_u32_e32 v18, vcc_lo, 1, v64, vcc_lo
	s_delay_alu instid0(VALU_DEP_4) | instskip(NEXT) | instid1(VALU_DEP_4)
	v_add_co_u32 v97, vcc_lo, v48, v19
	v_add_co_ci_u32_e32 v98, vcc_lo, v49, v20, vcc_lo
.LBB2_78:                               ;   Parent Loop BB2_32 Depth=1
                                        ; =>  This Inner Loop Header: Depth=2
	s_delay_alu instid0(VALU_DEP_4) | instskip(NEXT) | instid1(VALU_DEP_4)
	v_dual_mov_b32 v19, v17 :: v_dual_add_nc_u32 v96, v96, v1
	v_mov_b32_e32 v20, v18
	s_delay_alu instid0(VALU_DEP_2) | instskip(SKIP_2) | instid1(VALU_DEP_1)
	v_cmp_le_i32_e32 vcc_lo, s14, v96
	global_store_b128 v[97:98], v[17:20], off
	v_add_co_u32 v97, s8, v97, v86
	v_add_co_ci_u32_e64 v98, s8, v98, v87, s8
	s_or_b32 s16, vcc_lo, s16
	s_delay_alu instid0(SALU_CYCLE_1)
	s_and_not1_b32 exec_lo, exec_lo, s16
	s_cbranch_execnz .LBB2_78
.LBB2_79:                               ;   in Loop: Header=BB2_32 Depth=1
	s_or_b32 exec_lo, exec_lo, s9
	v_add_co_u32 v96, vcc_lo, v84, v25
	v_add_co_ci_u32_e32 v97, vcc_lo, v85, v26, vcc_lo
	v_add_co_u32 v98, vcc_lo, v21, 1
	v_add_co_ci_u32_e32 v99, vcc_lo, 0, v22, vcc_lo
	s_and_not1_b32 vcc_lo, exec_lo, s15
	s_cbranch_vccnz .LBB2_167
; %bb.80:                               ;   in Loop: Header=BB2_32 Depth=1
	v_lshlrev_b64 v[17:18], 3, v[96:97]
	v_add_nc_u16 v150, v21, 1
	s_mov_b32 s16, 2
	s_delay_alu instid0(VALU_DEP_2) | instskip(NEXT) | instid1(VALU_DEP_3)
	v_add_co_u32 v148, vcc_lo, v128, v17
	v_add_co_ci_u32_e32 v149, vcc_lo, v129, v18, vcc_lo
.LBB2_81:                               ;   Parent Loop BB2_32 Depth=1
                                        ; =>  This Loop Header: Depth=2
                                        ;       Child Loop BB2_88 Depth 3
                                        ;       Child Loop BB2_108 Depth 3
	;; [unrolled: 1-line block ×3, first 2 shown]
                                        ;         Child Loop BB2_130 Depth 4
                                        ;       Child Loop BB2_148 Depth 3
                                        ;       Child Loop BB2_165 Depth 3
	s_sub_i32 s8, s10, s16
	s_delay_alu instid0(SALU_CYCLE_1) | instskip(NEXT) | instid1(SALU_CYCLE_1)
	s_ashr_i32 s9, s8, 31
	s_lshl_b64 s[8:9], s[8:9], 2
	s_delay_alu instid0(SALU_CYCLE_1)
	v_add_co_u32 v17, vcc_lo, v23, s8
	v_add_co_ci_u32_e32 v18, vcc_lo, s9, v24, vcc_lo
	s_waitcnt vmcnt(0) lgkmcnt(0)
	flat_load_b32 v19, v[17:18]
	s_and_saveexec_b32 s8, s1
	s_cbranch_execz .LBB2_99
; %bb.82:                               ;   in Loop: Header=BB2_81 Depth=2
	v_add_co_u32 v17, vcc_lo, v15, 1
	v_add_co_ci_u32_e32 v18, vcc_lo, 0, v16, vcc_lo
	v_add_co_u32 v20, vcc_lo, v54, 8
	v_add_co_ci_u32_e32 v21, vcc_lo, 0, v55, vcc_lo
	s_mov_b32 s9, exec_lo
	s_delay_alu instid0(VALU_DEP_1)
	v_cmpx_lt_u64_e64 v[20:21], v[17:18]
	s_cbranch_execz .LBB2_96
; %bb.83:                               ;   in Loop: Header=BB2_81 Depth=2
	s_sleep 1
	flat_load_b64 v[54:55], v[52:53] glc
	v_cmp_eq_u32_e32 vcc_lo, 0, v145
	s_and_saveexec_b32 s17, vcc_lo
	s_cbranch_execz .LBB2_95
; %bb.84:                               ;   in Loop: Header=BB2_81 Depth=2
	v_cndmask_b32_e64 v16, 0, 1, vcc_lo
	s_mov_b32 s18, 0
                                        ; implicit-def: $sgpr19
	s_branch .LBB2_88
.LBB2_85:                               ;   in Loop: Header=BB2_88 Depth=3
	s_or_b32 exec_lo, exec_lo, s22
	s_delay_alu instid0(SALU_CYCLE_1)
	s_or_not1_b32 s22, s23, exec_lo
.LBB2_86:                               ;   in Loop: Header=BB2_88 Depth=3
	s_or_b32 exec_lo, exec_lo, s21
	s_xor_b32 s21, s22, -1
	s_and_not1_b32 s19, s19, exec_lo
	s_and_b32 s21, s21, exec_lo
	s_delay_alu instid0(SALU_CYCLE_1)
	s_or_b32 s19, s19, s21
.LBB2_87:                               ;   in Loop: Header=BB2_88 Depth=3
	s_or_b32 exec_lo, exec_lo, s20
	s_delay_alu instid0(SALU_CYCLE_1) | instskip(NEXT) | instid1(SALU_CYCLE_1)
	s_and_b32 s20, exec_lo, s19
	s_or_b32 s18, s20, s18
	s_delay_alu instid0(SALU_CYCLE_1)
	s_and_not1_b32 exec_lo, exec_lo, s18
	s_cbranch_execz .LBB2_94
.LBB2_88:                               ;   Parent Loop BB2_32 Depth=1
                                        ;     Parent Loop BB2_81 Depth=2
                                        ; =>    This Inner Loop Header: Depth=3
	s_waitcnt vmcnt(0) lgkmcnt(0)
	v_add_co_u32 v20, vcc_lo, v54, 8
	v_add_co_ci_u32_e32 v21, vcc_lo, 0, v55, vcc_lo
	v_mov_b32_e32 v145, 0
	s_or_b32 s19, s19, exec_lo
	s_mov_b32 s20, exec_lo
	s_delay_alu instid0(VALU_DEP_2)
	v_cmpx_lt_u64_e64 v[20:21], v[17:18]
	s_cbranch_execz .LBB2_87
; %bb.89:                               ;   in Loop: Header=BB2_88 Depth=3
	s_sleep 1
	flat_load_b64 v[54:55], v[52:53] glc
	v_dual_mov_b32 v145, 0 :: v_dual_add_nc_u32 v16, 1, v16
	s_mov_b32 s22, -1
	s_mov_b32 s21, exec_lo
	s_delay_alu instid0(VALU_DEP_1)
	v_cmpx_eq_u32_e32 0x2710, v16
	s_cbranch_execz .LBB2_86
; %bb.90:                               ;   in Loop: Header=BB2_88 Depth=3
	s_cbranch_execnz .LBB2_235
; %bb.91:                               ;   in Loop: Header=BB2_88 Depth=3
	ds_load_b64 v[20:21], v0
	v_dual_mov_b32 v16, 0 :: v_dual_mov_b32 v145, 0
	s_mov_b32 s23, -1
	s_mov_b32 s22, exec_lo
	s_waitcnt vmcnt(0) lgkmcnt(0)
	s_waitcnt_vscnt null, 0x0
	flat_load_b32 v20, v[20:21] glc
	s_waitcnt vmcnt(0) lgkmcnt(0)
	buffer_gl1_inv
	buffer_gl0_inv
	v_cmpx_ne_u32_e32 0, v20
	s_cbranch_execz .LBB2_85
; %bb.92:                               ;   in Loop: Header=BB2_88 Depth=3
	ds_store_b32 v0, v20
	s_cbranch_execnz .LBB2_262
; %bb.93:                               ;   in Loop: Header=BB2_88 Depth=3
	v_mov_b32_e32 v145, 1
	s_xor_b32 s23, exec_lo, -1
	s_branch .LBB2_85
.LBB2_94:                               ;   in Loop: Header=BB2_81 Depth=2
	s_or_b32 exec_lo, exec_lo, s18
.LBB2_95:                               ;   in Loop: Header=BB2_81 Depth=2
	s_delay_alu instid0(SALU_CYCLE_1)
	s_or_b32 exec_lo, exec_lo, s17
.LBB2_96:                               ;   in Loop: Header=BB2_81 Depth=2
	s_delay_alu instid0(SALU_CYCLE_1)
	s_or_b32 exec_lo, exec_lo, s9
	s_and_saveexec_b32 s9, s2
	s_cbranch_execz .LBB2_98
; %bb.97:                               ;   in Loop: Header=BB2_81 Depth=2
	v_and_b32_e32 v64, 0x7ffffff8, v15
	v_and_b32_e32 v22, 7, v15
	s_delay_alu instid0(VALU_DEP_2) | instskip(NEXT) | instid1(VALU_DEP_2)
	v_cmp_eq_u64_e32 vcc_lo, 0x7ffffff8, v[64:65]
	v_mad_u64_u32 v[20:21], null, v22, 24, v[13:14]
	v_cndmask_b32_e64 v16, v146, s14, vcc_lo
	s_delay_alu instid0(VALU_DEP_1) | instskip(NEXT) | instid1(VALU_DEP_1)
	v_lshlrev_b32_e32 v15, 4, v16
	v_ashrrev_i32_e32 v16, 31, v15
	flat_store_b64 v[20:21], v[15:16] offset:8 dlc
	s_waitcnt_vscnt null, 0x0
.LBB2_98:                               ;   in Loop: Header=BB2_81 Depth=2
	s_or_b32 exec_lo, exec_lo, s9
	v_dual_mov_b32 v15, v17 :: v_dual_mov_b32 v16, v18
.LBB2_99:                               ;   in Loop: Header=BB2_81 Depth=2
	s_or_b32 exec_lo, exec_lo, s8
	s_and_saveexec_b32 s8, s3
	s_cbranch_execz .LBB2_121
; %bb.100:                              ;   in Loop: Header=BB2_81 Depth=2
	s_and_saveexec_b32 s9, s4
	s_delay_alu instid0(SALU_CYCLE_1)
	s_xor_b32 s9, exec_lo, s9
	s_cbranch_execz .LBB2_118
; %bb.101:                              ;   in Loop: Header=BB2_81 Depth=2
	s_and_saveexec_b32 s17, s5
	s_cbranch_execz .LBB2_117
; %bb.102:                              ;   in Loop: Header=BB2_81 Depth=2
	s_mov_b32 s19, exec_lo
	s_mov_b32 s18, exec_lo
	v_mbcnt_lo_u32_b32 v17, s19, 0
	s_waitcnt vmcnt(0) lgkmcnt(0)
	s_waitcnt_vscnt null, 0x0
	buffer_gl1_inv
	buffer_gl0_inv
	v_cmpx_eq_u32_e32 0, v17
	s_cbranch_execz .LBB2_104
; %bb.103:                              ;   in Loop: Header=BB2_81 Depth=2
	s_bcnt1_i32_b32 s19, s19
	s_delay_alu instid0(SALU_CYCLE_1)
	v_mov_b32_e32 v64, s19
	ds_add_u64 v0, v[64:65]
	s_cbranch_execnz .LBB2_260
.LBB2_104:                              ;   in Loop: Header=BB2_81 Depth=2
	s_or_b32 exec_lo, exec_lo, s18
	s_cbranch_execnz .LBB2_254
; %bb.105:                              ;   in Loop: Header=BB2_81 Depth=2
	ds_load_b64 v[17:18], v0
	v_add_co_u32 v2, vcc_lo, v2, v118
	v_add_co_ci_u32_e32 v3, vcc_lo, v3, v119, vcc_lo
	s_mov_b32 s18, exec_lo
	s_waitcnt lgkmcnt(0)
	s_delay_alu instid0(VALU_DEP_1)
	v_cmpx_lt_u64_e64 v[17:18], v[2:3]
	s_cbranch_execz .LBB2_116
; %bb.106:                              ;   in Loop: Header=BB2_81 Depth=2
	s_mov_b32 s19, 0
	s_mov_b32 s22, 0
                                        ; implicit-def: $sgpr20
                                        ; implicit-def: $sgpr21
	s_branch .LBB2_108
.LBB2_107:                              ;   in Loop: Header=BB2_108 Depth=3
	s_or_b32 exec_lo, exec_lo, s25
	s_delay_alu instid0(SALU_CYCLE_1) | instskip(NEXT) | instid1(SALU_CYCLE_1)
	s_and_b32 s23, exec_lo, s24
	s_or_b32 s19, s23, s19
	s_and_not1_b32 s20, s20, exec_lo
	s_and_b32 s23, s21, exec_lo
	s_delay_alu instid0(SALU_CYCLE_1)
	s_or_b32 s20, s20, s23
	s_and_not1_b32 exec_lo, exec_lo, s19
	s_cbranch_execz .LBB2_114
.LBB2_108:                              ;   Parent Loop BB2_32 Depth=1
                                        ;     Parent Loop BB2_81 Depth=2
                                        ; =>    This Inner Loop Header: Depth=3
	s_add_i32 s22, s22, 1
                                        ; implicit-def: $sgpr24
	s_delay_alu instid0(SALU_CYCLE_1) | instskip(SKIP_1) | instid1(SALU_CYCLE_1)
	s_cmpk_lg_i32 s22, 0x2710
	s_cselect_b32 s23, -1, 0
	s_and_b32 vcc_lo, exec_lo, s23
	s_cbranch_vccz .LBB2_112
.LBB2_109:                              ;   in Loop: Header=BB2_108 Depth=3
	s_and_not1_b32 s21, s21, exec_lo
	s_and_b32 s25, s24, exec_lo
	s_mov_b32 s24, -1
	s_or_b32 s21, s21, s25
	s_and_saveexec_b32 s25, s23
	s_cbranch_execz .LBB2_107
; %bb.110:                              ;   in Loop: Header=BB2_108 Depth=3
	s_sleep 1
	s_cbranch_execnz .LBB2_278
; %bb.111:                              ;   in Loop: Header=BB2_108 Depth=3
	ds_load_b64 v[17:18], v0
	s_and_not1_b32 s21, s21, exec_lo
	s_waitcnt lgkmcnt(0)
	v_cmp_ge_u64_e32 vcc_lo, v[17:18], v[2:3]
	s_or_not1_b32 s24, vcc_lo, exec_lo
	s_branch .LBB2_107
.LBB2_112:                              ;   in Loop: Header=BB2_108 Depth=3
	s_cbranch_execnz .LBB2_282
; %bb.113:                              ;   in Loop: Header=BB2_108 Depth=3
	ds_load_b64 v[17:18], v0
	s_and_not1_b32 s23, s23, exec_lo
	s_mov_b32 s22, 0
	s_mov_b32 s24, -1
	s_waitcnt lgkmcnt(0)
	flat_load_b32 v17, v[17:18] glc
	s_waitcnt vmcnt(0) lgkmcnt(0)
	buffer_gl1_inv
	buffer_gl0_inv
	v_cmp_eq_u32_e32 vcc_lo, 0, v17
	s_and_b32 s25, vcc_lo, exec_lo
	s_delay_alu instid0(SALU_CYCLE_1)
	s_or_b32 s23, s23, s25
	s_branch .LBB2_109
.LBB2_114:                              ;   in Loop: Header=BB2_81 Depth=2
	s_or_b32 exec_lo, exec_lo, s19
	s_and_saveexec_b32 s19, s20
	s_delay_alu instid0(SALU_CYCLE_1)
	s_xor_b32 s19, exec_lo, s19
	s_cbranch_execz .LBB2_116
; %bb.115:                              ;   in Loop: Header=BB2_81 Depth=2
	ds_store_b32 v0, v144
	s_cbranch_execnz .LBB2_303
.LBB2_116:                              ;   in Loop: Header=BB2_81 Depth=2
	s_or_b32 exec_lo, exec_lo, s18
	;;#ASMSTART
	s_wakeup
	;;#ASMEND
.LBB2_117:                              ;   in Loop: Header=BB2_81 Depth=2
	s_or_b32 exec_lo, exec_lo, s17
.LBB2_118:                              ;   in Loop: Header=BB2_81 Depth=2
	s_and_not1_saveexec_b32 s9, s9
	s_cbranch_execz .LBB2_120
; %bb.119:                              ;   in Loop: Header=BB2_81 Depth=2
	s_waitcnt vmcnt(0) lgkmcnt(0)
	s_waitcnt_vscnt null, 0x0
	buffer_gl1_inv
	buffer_gl0_inv
	s_barrier
.LBB2_120:                              ;   in Loop: Header=BB2_81 Depth=2
	s_or_b32 exec_lo, exec_lo, s9
.LBB2_121:                              ;   in Loop: Header=BB2_81 Depth=2
	s_delay_alu instid0(SALU_CYCLE_1)
	s_or_b32 exec_lo, exec_lo, s8
	v_mov_b32_e32 v100, v4
	s_and_saveexec_b32 s17, s7
	s_cbranch_execz .LBB2_139
; %bb.122:                              ;   in Loop: Header=BB2_81 Depth=2
	s_waitcnt vmcnt(0) lgkmcnt(0)
	v_ashrrev_i32_e32 v20, 31, v19
	v_mul_lo_u32 v22, v69, v19
	v_mad_u64_u32 v[17:18], null, v68, v19, 0
	v_dual_mov_b32 v100, v98 :: v_dual_and_b32 v19, 7, v34
	s_delay_alu instid0(VALU_DEP_4) | instskip(SKIP_1) | instid1(VALU_DEP_3)
	v_mul_lo_u32 v20, v68, v20
	v_dual_mov_b32 v164, v147 :: v_dual_and_b32 v21, 7, v98
	v_mul_lo_u32 v19, v19, s14
	v_add_nc_u32_e32 v64, 1, v34
	s_mov_b32 s18, 0
	s_delay_alu instid0(VALU_DEP_3) | instskip(SKIP_1) | instid1(VALU_DEP_4)
	v_mul_lo_u32 v21, v21, s14
	v_add3_u32 v18, v18, v20, v22
	v_ashrrev_i32_e32 v20, 31, v19
	s_delay_alu instid0(VALU_DEP_2) | instskip(NEXT) | instid1(VALU_DEP_4)
	v_lshlrev_b64 v[17:18], 3, v[17:18]
	v_ashrrev_i32_e32 v22, 31, v21
	s_delay_alu instid0(VALU_DEP_3) | instskip(NEXT) | instid1(VALU_DEP_2)
	v_lshlrev_b64 v[19:20], 4, v[19:20]
	v_lshlrev_b64 v[21:22], 4, v[21:22]
	s_delay_alu instid0(VALU_DEP_4) | instskip(SKIP_1) | instid1(VALU_DEP_4)
	v_add_co_u32 v102, vcc_lo, v148, v17
	v_add_co_ci_u32_e32 v103, vcc_lo, v149, v18, vcc_lo
	v_add_co_u32 v151, vcc_lo, v32, v19
	v_add_co_ci_u32_e32 v160, vcc_lo, v33, v20, vcc_lo
	;; [unrolled: 2-line block ×4, first 2 shown]
	v_mov_b32_e32 v100, v4
	s_branch .LBB2_126
.LBB2_123:                              ;   in Loop: Header=BB2_126 Depth=3
	s_or_b32 exec_lo, exec_lo, s20
	s_xor_b32 s8, s21, -1
	s_delay_alu instid0(SALU_CYCLE_1) | instskip(NEXT) | instid1(SALU_CYCLE_1)
	s_and_saveexec_b32 s20, s8
	s_xor_b32 s8, exec_lo, s20
	s_delay_alu instid0(SALU_CYCLE_1) | instskip(NEXT) | instid1(SALU_CYCLE_1)
	s_and_not1_saveexec_b32 s8, s8
	s_or_b32 exec_lo, exec_lo, s8
.LBB2_124:                              ;   in Loop: Header=BB2_126 Depth=3
	s_delay_alu instid0(SALU_CYCLE_1)
	s_or_b32 exec_lo, exec_lo, s9
.LBB2_125:                              ;   in Loop: Header=BB2_126 Depth=3
	s_delay_alu instid0(SALU_CYCLE_1)
	s_or_b32 exec_lo, exec_lo, s19
	v_xor_b32_e32 v117, v21, v28
	v_xor_b32_e32 v116, v19, v27
	s_waitcnt vmcnt(0) lgkmcnt(0)
	v_xor_b32_e32 v166, v113, v28
	v_xor_b32_e32 v165, v112, v27
	v_sub_nc_u32_e32 v164, v164, v1
	v_add_co_u32 v102, s8, v102, v82
	s_delay_alu instid0(VALU_DEP_1) | instskip(NEXT) | instid1(VALU_DEP_4)
	v_add_co_ci_u32_e64 v103, s8, v103, v83, s8
	v_cmp_lt_u64_e32 vcc_lo, v[116:117], v[165:166]
	v_add_nc_u32_e32 v100, v100, v1
	v_dual_cndmask_b32 v20, v113, v21 :: v_dual_cndmask_b32 v17, v112, v19
	v_add_co_u32 v21, vcc_lo, v161, v114
	v_add_co_ci_u32_e32 v22, vcc_lo, v162, v115, vcc_lo
	v_cmp_gt_i32_e32 vcc_lo, 1, v164
	s_delay_alu instid0(VALU_DEP_4)
	v_or_b32_e32 v17, v17, v163
	v_or_b32_e32 v19, v20, v163
	v_mov_b32_e32 v20, v18
	s_or_b32 s18, vcc_lo, s18
	global_store_b128 v[21:22], v[17:20], off
	s_and_not1_b32 exec_lo, exec_lo, s18
	s_cbranch_execz .LBB2_138
.LBB2_126:                              ;   Parent Loop BB2_32 Depth=1
                                        ;     Parent Loop BB2_81 Depth=2
                                        ; =>    This Loop Header: Depth=3
                                        ;         Child Loop BB2_130 Depth 4
	flat_load_b64 v[112:113], v[102:103] glc
	v_ashrrev_i32_e32 v101, 31, v100
	s_delay_alu instid0(VALU_DEP_1) | instskip(NEXT) | instid1(VALU_DEP_1)
	v_lshlrev_b64 v[114:115], 4, v[100:101]
	v_add_co_u32 v116, vcc_lo, v151, v114
	s_delay_alu instid0(VALU_DEP_2)
	v_add_co_ci_u32_e32 v117, vcc_lo, v160, v115, vcc_lo
	v_cmp_eq_u32_e32 vcc_lo, 0, v145
	;;#ASMSTART
	global_load_b128 v[19:22], v[116:117], off glc slc dlc
s_waitcnt vmcnt(0)

	;;#ASMEND
	s_and_saveexec_b32 s19, vcc_lo
	s_cbranch_execz .LBB2_125
; %bb.127:                              ;   in Loop: Header=BB2_126 Depth=3
	v_cmp_ne_u32_e64 s8, v64, v20
	v_cmp_ne_u32_e64 s9, v64, v22
	v_mov_b32_e32 v145, 0
	s_delay_alu instid0(VALU_DEP_2) | instskip(NEXT) | instid1(SALU_CYCLE_1)
	s_or_b32 s8, s8, s9
	s_and_saveexec_b32 s9, s8
	s_cbranch_execz .LBB2_124
; %bb.128:                              ;   in Loop: Header=BB2_126 Depth=3
	v_cndmask_b32_e64 v17, 0, 1, vcc_lo
	s_mov_b32 s20, 0
                                        ; implicit-def: $sgpr21
                                        ; implicit-def: $sgpr22
	s_branch .LBB2_130
.LBB2_129:                              ;   in Loop: Header=BB2_130 Depth=4
	s_or_b32 exec_lo, exec_lo, s23
	s_delay_alu instid0(SALU_CYCLE_1) | instskip(NEXT) | instid1(SALU_CYCLE_1)
	s_and_b32 s8, exec_lo, s8
	s_or_b32 s20, s8, s20
	s_and_not1_b32 s8, s21, exec_lo
	s_and_b32 s21, s22, exec_lo
	s_delay_alu instid0(SALU_CYCLE_1)
	s_or_b32 s21, s8, s21
	s_and_not1_b32 exec_lo, exec_lo, s20
	s_cbranch_execz .LBB2_123
.LBB2_130:                              ;   Parent Loop BB2_32 Depth=1
                                        ;     Parent Loop BB2_81 Depth=2
                                        ;       Parent Loop BB2_126 Depth=3
                                        ; =>      This Inner Loop Header: Depth=4
	s_delay_alu instid0(VALU_DEP_1)
	v_add_nc_u32_e32 v17, 1, v17
	v_mov_b32_e32 v145, 0
	s_mov_b32 s8, -1
	s_mov_b32 s24, -1
	s_mov_b32 s23, exec_lo
	;;#ASMSTART
	global_load_b128 v[19:22], v[116:117], off glc slc dlc
s_waitcnt vmcnt(0)

	;;#ASMEND
	v_cmpx_eq_u32_e32 0x2710, v17
	s_cbranch_execz .LBB2_136
; %bb.131:                              ;   in Loop: Header=BB2_130 Depth=4
	s_cbranch_execnz .LBB2_229
; %bb.132:                              ;   in Loop: Header=BB2_130 Depth=4
	ds_load_b64 v[165:166], v0
	v_mov_b32_e32 v17, 0
	v_mov_b32_e32 v145, 0
	s_mov_b32 s25, -1
	s_mov_b32 s24, exec_lo
	s_waitcnt vmcnt(0) lgkmcnt(0)
	s_waitcnt_vscnt null, 0x0
	flat_load_b32 v101, v[165:166] glc
	s_waitcnt vmcnt(0) lgkmcnt(0)
	buffer_gl1_inv
	buffer_gl0_inv
	v_cmpx_ne_u32_e32 0, v101
	s_cbranch_execz .LBB2_135
; %bb.133:                              ;   in Loop: Header=BB2_130 Depth=4
	ds_store_b32 v0, v101
	s_cbranch_execnz .LBB2_237
; %bb.134:                              ;   in Loop: Header=BB2_130 Depth=4
	v_mov_b32_e32 v145, 1
	s_xor_b32 s25, exec_lo, -1
.LBB2_135:                              ;   in Loop: Header=BB2_130 Depth=4
	s_or_b32 exec_lo, exec_lo, s24
	s_delay_alu instid0(SALU_CYCLE_1)
	s_or_not1_b32 s24, s25, exec_lo
.LBB2_136:                              ;   in Loop: Header=BB2_130 Depth=4
	s_or_b32 exec_lo, exec_lo, s23
	s_delay_alu instid0(SALU_CYCLE_1)
	s_or_b32 s22, s22, exec_lo
	s_and_saveexec_b32 s23, s24
	s_cbranch_execz .LBB2_129
; %bb.137:                              ;   in Loop: Header=BB2_130 Depth=4
	v_cmp_eq_u32_e32 vcc_lo, v64, v20
	v_cmp_eq_u32_e64 s8, v64, v22
	s_and_not1_b32 s22, s22, exec_lo
	s_delay_alu instid0(VALU_DEP_1) | instskip(NEXT) | instid1(SALU_CYCLE_1)
	s_and_b32 s8, vcc_lo, s8
	s_or_not1_b32 s8, s8, exec_lo
	s_branch .LBB2_129
.LBB2_138:                              ;   in Loop: Header=BB2_81 Depth=2
	s_or_b32 exec_lo, exec_lo, s18
.LBB2_139:                              ;   in Loop: Header=BB2_81 Depth=2
	s_delay_alu instid0(SALU_CYCLE_1)
	s_or_b32 exec_lo, exec_lo, s17
	s_and_saveexec_b32 s8, s3
	s_cbranch_execz .LBB2_161
; %bb.140:                              ;   in Loop: Header=BB2_81 Depth=2
	s_and_saveexec_b32 s9, s4
	s_delay_alu instid0(SALU_CYCLE_1)
	s_xor_b32 s9, exec_lo, s9
	s_cbranch_execz .LBB2_158
; %bb.141:                              ;   in Loop: Header=BB2_81 Depth=2
	s_and_saveexec_b32 s17, s5
	s_cbranch_execz .LBB2_157
; %bb.142:                              ;   in Loop: Header=BB2_81 Depth=2
	s_mov_b32 s19, exec_lo
	s_mov_b32 s18, exec_lo
	v_mbcnt_lo_u32_b32 v17, s19, 0
	s_waitcnt vmcnt(0) lgkmcnt(0)
	s_waitcnt_vscnt null, 0x0
	buffer_gl1_inv
	buffer_gl0_inv
	v_cmpx_eq_u32_e32 0, v17
	s_cbranch_execz .LBB2_144
; %bb.143:                              ;   in Loop: Header=BB2_81 Depth=2
	s_bcnt1_i32_b32 s19, s19
	s_delay_alu instid0(SALU_CYCLE_1)
	v_mov_b32_e32 v64, s19
	ds_add_u64 v0, v[64:65]
	s_cbranch_execnz .LBB2_272
.LBB2_144:                              ;   in Loop: Header=BB2_81 Depth=2
	s_or_b32 exec_lo, exec_lo, s18
	s_cbranch_execnz .LBB2_264
; %bb.145:                              ;   in Loop: Header=BB2_81 Depth=2
	ds_load_b64 v[17:18], v0
	v_add_co_u32 v2, vcc_lo, v2, v118
	v_add_co_ci_u32_e32 v3, vcc_lo, v3, v119, vcc_lo
	s_mov_b32 s18, exec_lo
	s_waitcnt lgkmcnt(0)
	s_delay_alu instid0(VALU_DEP_1)
	v_cmpx_lt_u64_e64 v[17:18], v[2:3]
	s_cbranch_execz .LBB2_156
; %bb.146:                              ;   in Loop: Header=BB2_81 Depth=2
	s_mov_b32 s19, 0
	s_mov_b32 s22, 0
                                        ; implicit-def: $sgpr20
                                        ; implicit-def: $sgpr21
	s_branch .LBB2_148
.LBB2_147:                              ;   in Loop: Header=BB2_148 Depth=3
	s_or_b32 exec_lo, exec_lo, s25
	s_delay_alu instid0(SALU_CYCLE_1) | instskip(NEXT) | instid1(SALU_CYCLE_1)
	s_and_b32 s23, exec_lo, s24
	s_or_b32 s19, s23, s19
	s_and_not1_b32 s20, s20, exec_lo
	s_and_b32 s23, s21, exec_lo
	s_delay_alu instid0(SALU_CYCLE_1)
	s_or_b32 s20, s20, s23
	s_and_not1_b32 exec_lo, exec_lo, s19
	s_cbranch_execz .LBB2_154
.LBB2_148:                              ;   Parent Loop BB2_32 Depth=1
                                        ;     Parent Loop BB2_81 Depth=2
                                        ; =>    This Inner Loop Header: Depth=3
	s_add_i32 s22, s22, 1
                                        ; implicit-def: $sgpr24
	s_delay_alu instid0(SALU_CYCLE_1) | instskip(SKIP_1) | instid1(SALU_CYCLE_1)
	s_cmpk_lg_i32 s22, 0x2710
	s_cselect_b32 s23, -1, 0
	s_and_b32 vcc_lo, exec_lo, s23
	s_cbranch_vccz .LBB2_152
.LBB2_149:                              ;   in Loop: Header=BB2_148 Depth=3
	s_and_not1_b32 s21, s21, exec_lo
	s_and_b32 s25, s24, exec_lo
	s_mov_b32 s24, -1
	s_or_b32 s21, s21, s25
	s_and_saveexec_b32 s25, s23
	s_cbranch_execz .LBB2_147
; %bb.150:                              ;   in Loop: Header=BB2_148 Depth=3
	s_sleep 1
	s_cbranch_execnz .LBB2_284
; %bb.151:                              ;   in Loop: Header=BB2_148 Depth=3
	ds_load_b64 v[17:18], v0
	s_and_not1_b32 s21, s21, exec_lo
	s_waitcnt lgkmcnt(0)
	v_cmp_ge_u64_e32 vcc_lo, v[17:18], v[2:3]
	s_or_not1_b32 s24, vcc_lo, exec_lo
	s_branch .LBB2_147
.LBB2_152:                              ;   in Loop: Header=BB2_148 Depth=3
	s_cbranch_execnz .LBB2_286
; %bb.153:                              ;   in Loop: Header=BB2_148 Depth=3
	ds_load_b64 v[17:18], v0
	s_and_not1_b32 s23, s23, exec_lo
	s_mov_b32 s22, 0
	s_mov_b32 s24, -1
	s_waitcnt lgkmcnt(0)
	flat_load_b32 v17, v[17:18] glc
	s_waitcnt vmcnt(0) lgkmcnt(0)
	buffer_gl1_inv
	buffer_gl0_inv
	v_cmp_eq_u32_e32 vcc_lo, 0, v17
	s_and_b32 s25, vcc_lo, exec_lo
	s_delay_alu instid0(SALU_CYCLE_1)
	s_or_b32 s23, s23, s25
	s_branch .LBB2_149
.LBB2_154:                              ;   in Loop: Header=BB2_81 Depth=2
	s_or_b32 exec_lo, exec_lo, s19
	s_and_saveexec_b32 s19, s20
	s_delay_alu instid0(SALU_CYCLE_1)
	s_xor_b32 s19, exec_lo, s19
	s_cbranch_execz .LBB2_156
; %bb.155:                              ;   in Loop: Header=BB2_81 Depth=2
	ds_store_b32 v0, v144
	s_cbranch_execnz .LBB2_305
.LBB2_156:                              ;   in Loop: Header=BB2_81 Depth=2
	s_or_b32 exec_lo, exec_lo, s18
	;;#ASMSTART
	s_wakeup
	;;#ASMEND
.LBB2_157:                              ;   in Loop: Header=BB2_81 Depth=2
	s_or_b32 exec_lo, exec_lo, s17
.LBB2_158:                              ;   in Loop: Header=BB2_81 Depth=2
	s_and_not1_saveexec_b32 s9, s9
	s_cbranch_execz .LBB2_160
; %bb.159:                              ;   in Loop: Header=BB2_81 Depth=2
	s_waitcnt vmcnt(0) lgkmcnt(0)
	s_waitcnt_vscnt null, 0x0
	buffer_gl1_inv
	buffer_gl0_inv
	s_barrier
.LBB2_160:                              ;   in Loop: Header=BB2_81 Depth=2
	s_or_b32 exec_lo, exec_lo, s9
.LBB2_161:                              ;   in Loop: Header=BB2_81 Depth=2
	s_delay_alu instid0(SALU_CYCLE_1)
	s_or_b32 exec_lo, exec_lo, s8
	s_and_saveexec_b32 s8, s6
	s_cbranch_execz .LBB2_163
; %bb.162:                              ;   in Loop: Header=BB2_81 Depth=2
	v_add_co_u32 v50, vcc_lo, v50, 1
	v_add_co_ci_u32_e32 v51, vcc_lo, 0, v51, vcc_lo
	s_waitcnt vmcnt(0) lgkmcnt(0)
	s_waitcnt_vscnt null, 0x0
	flat_store_b64 v[38:39], v[50:51]
.LBB2_163:                              ;   in Loop: Header=BB2_81 Depth=2
	s_or_b32 exec_lo, exec_lo, s8
	v_and_b32_e32 v64, 0x7ffffff8, v98
	v_cmp_gt_i32_e64 s8, s14, v100
	s_delay_alu instid0(VALU_DEP_2) | instskip(NEXT) | instid1(VALU_DEP_2)
	v_cmp_eq_u64_e32 vcc_lo, 0x7ffffff8, v[64:65]
	s_and_b32 s8, vcc_lo, s8
	s_delay_alu instid0(SALU_CYCLE_1)
	s_and_saveexec_b32 s9, s8
	s_cbranch_execz .LBB2_166
; %bb.164:                              ;   in Loop: Header=BB2_81 Depth=2
	v_and_b32_e32 v17, 7, v150
	v_ashrrev_i32_e32 v101, 31, v100
	v_mov_b32_e32 v21, v98
	s_mov_b32 s17, 0
	s_delay_alu instid0(VALU_DEP_3) | instskip(SKIP_2) | instid1(VALU_DEP_2)
	v_mul_lo_u32 v17, s14, v17
	s_waitcnt vmcnt(0) lgkmcnt(0)
	v_lshlrev_b64 v[19:20], 4, v[100:101]
	v_ashrrev_i32_e32 v18, 31, v17
	s_delay_alu instid0(VALU_DEP_1) | instskip(NEXT) | instid1(VALU_DEP_1)
	v_lshlrev_b64 v[17:18], 4, v[17:18]
	v_add_co_u32 v19, vcc_lo, v19, v17
	s_delay_alu instid0(VALU_DEP_2) | instskip(SKIP_2) | instid1(VALU_DEP_4)
	v_add_co_ci_u32_e32 v20, vcc_lo, v20, v18, vcc_lo
	v_add_co_u32 v17, vcc_lo, 0, 0
	v_add_co_ci_u32_e32 v18, vcc_lo, 1, v21, vcc_lo
	v_add_co_u32 v21, vcc_lo, v48, v19
	s_delay_alu instid0(VALU_DEP_4)
	v_add_co_ci_u32_e32 v22, vcc_lo, v49, v20, vcc_lo
.LBB2_165:                              ;   Parent Loop BB2_32 Depth=1
                                        ;     Parent Loop BB2_81 Depth=2
                                        ; =>    This Inner Loop Header: Depth=3
	s_delay_alu instid0(VALU_DEP_4) | instskip(NEXT) | instid1(VALU_DEP_4)
	v_dual_mov_b32 v19, v17 :: v_dual_add_nc_u32 v100, v100, v1
	v_mov_b32_e32 v20, v18
	s_delay_alu instid0(VALU_DEP_2) | instskip(SKIP_2) | instid1(VALU_DEP_1)
	v_cmp_le_i32_e32 vcc_lo, s14, v100
	global_store_b128 v[21:22], v[17:20], off
	v_add_co_u32 v21, s8, v21, v86
	v_add_co_ci_u32_e64 v22, s8, v22, v87, s8
	s_or_b32 s17, vcc_lo, s17
	s_delay_alu instid0(SALU_CYCLE_1)
	s_and_not1_b32 exec_lo, exec_lo, s17
	s_cbranch_execnz .LBB2_165
.LBB2_166:                              ;   in Loop: Header=BB2_81 Depth=2
	s_or_b32 exec_lo, exec_lo, s9
	v_add_co_u32 v34, vcc_lo, v34, 1
	v_add_co_ci_u32_e32 v35, vcc_lo, 0, v35, vcc_lo
	v_add_co_u32 v98, vcc_lo, v98, 1
	v_add_co_ci_u32_e32 v99, vcc_lo, 0, v99, vcc_lo
	v_add_nc_u16 v150, v150, 1
	s_add_i32 s16, s16, 1
	s_delay_alu instid0(SALU_CYCLE_1)
	s_cmp_eq_u32 s16, s10
	s_cbranch_scc0 .LBB2_81
.LBB2_167:                              ;   in Loop: Header=BB2_32 Depth=1
	s_delay_alu instid0(VALU_DEP_1)
	v_dual_mov_b32 v21, v98 :: v_dual_mov_b32 v22, v99
	s_and_saveexec_b32 s9, s7
	s_cbranch_execz .LBB2_189
; %bb.168:                              ;   in Loop: Header=BB2_32 Depth=1
	s_waitcnt vmcnt(0) lgkmcnt(0)
	flat_load_b32 v19, v[23:24]
	v_and_b32_e32 v64, 7, v34
	s_mov_b32 s16, 0
	s_delay_alu instid0(VALU_DEP_1)
	v_mul_lo_u32 v98, v64, s14
	v_add_nc_u32_e32 v64, 1, v34
	s_waitcnt vmcnt(0) lgkmcnt(0)
	v_ashrrev_i32_e32 v20, 31, v19
	v_mul_lo_u32 v99, v69, v19
	v_mad_u64_u32 v[17:18], null, v68, v19, 0
	s_delay_alu instid0(VALU_DEP_3) | instskip(SKIP_1) | instid1(VALU_DEP_2)
	v_mul_lo_u32 v100, v68, v20
	v_lshlrev_b64 v[19:20], 3, v[96:97]
	v_add3_u32 v18, v18, v100, v99
	s_delay_alu instid0(VALU_DEP_2) | instskip(SKIP_1) | instid1(VALU_DEP_4)
	v_add_co_u32 v100, vcc_lo, v11, v19
	v_ashrrev_i32_e32 v99, 31, v98
	v_add_co_ci_u32_e32 v101, vcc_lo, v12, v20, vcc_lo
	s_delay_alu instid0(VALU_DEP_4) | instskip(SKIP_3) | instid1(VALU_DEP_4)
	v_lshlrev_b64 v[17:18], 3, v[17:18]
	v_add_co_u32 v96, vcc_lo, v130, v19
	v_add_co_ci_u32_e32 v97, vcc_lo, v131, v20, vcc_lo
	v_lshlrev_b64 v[19:20], 4, v[98:99]
	v_add_co_u32 v17, vcc_lo, v100, v17
	v_add_co_ci_u32_e32 v18, vcc_lo, v101, v18, vcc_lo
	v_mov_b32_e32 v100, v4
	s_delay_alu instid0(VALU_DEP_4)
	v_add_co_u32 v114, vcc_lo, v32, v19
	v_add_co_ci_u32_e32 v115, vcc_lo, v33, v20, vcc_lo
	v_add_co_u32 v98, vcc_lo, v17, v80
	v_add_co_ci_u32_e32 v99, vcc_lo, v18, v81, vcc_lo
	s_branch .LBB2_170
.LBB2_169:                              ;   in Loop: Header=BB2_170 Depth=2
	v_sub_nc_u32_e32 v147, v147, v1
	v_add_co_u32 v98, vcc_lo, v98, v82
	v_add_co_ci_u32_e32 v99, vcc_lo, v99, v83, vcc_lo
	s_delay_alu instid0(VALU_DEP_3) | instskip(SKIP_1) | instid1(VALU_DEP_1)
	v_cmp_gt_i32_e32 vcc_lo, 1, v147
	v_add_co_u32 v96, s7, v96, v82
	v_add_co_ci_u32_e64 v97, s7, v97, v83, s7
	v_add_nc_u32_e32 v100, v100, v1
	s_or_b32 s16, vcc_lo, s16
	s_delay_alu instid0(SALU_CYCLE_1)
	s_and_not1_b32 exec_lo, exec_lo, s16
	s_cbranch_execz .LBB2_188
.LBB2_170:                              ;   Parent Loop BB2_32 Depth=1
                                        ; =>  This Loop Header: Depth=2
                                        ;       Child Loop BB2_174 Depth 3
	flat_load_b64 v[102:103], v[98:99] glc
	v_ashrrev_i32_e32 v101, 31, v100
	s_delay_alu instid0(VALU_DEP_1) | instskip(NEXT) | instid1(VALU_DEP_1)
	v_lshlrev_b64 v[17:18], 4, v[100:101]
	v_add_co_u32 v112, vcc_lo, v114, v17
	s_delay_alu instid0(VALU_DEP_2)
	v_add_co_ci_u32_e32 v113, vcc_lo, v115, v18, vcc_lo
	v_cmp_eq_u32_e32 vcc_lo, 0, v145
	;;#ASMSTART
	global_load_b128 v[17:20], v[112:113], off glc slc dlc
s_waitcnt vmcnt(0)

	;;#ASMEND
	s_and_saveexec_b32 s17, vcc_lo
	s_cbranch_execz .LBB2_184
; %bb.171:                              ;   in Loop: Header=BB2_170 Depth=2
	v_cmp_ne_u32_e64 s7, v64, v18
	v_cmp_ne_u32_e64 s8, v64, v20
	v_mov_b32_e32 v145, 0
	s_delay_alu instid0(VALU_DEP_2) | instskip(NEXT) | instid1(SALU_CYCLE_1)
	s_or_b32 s7, s7, s8
	s_and_saveexec_b32 s8, s7
	s_cbranch_execz .LBB2_183
; %bb.172:                              ;   in Loop: Header=BB2_170 Depth=2
	v_cndmask_b32_e64 v101, 0, 1, vcc_lo
	s_mov_b32 s18, 0
                                        ; implicit-def: $sgpr19
                                        ; implicit-def: $sgpr20
	s_branch .LBB2_174
.LBB2_173:                              ;   in Loop: Header=BB2_174 Depth=3
	s_or_b32 exec_lo, exec_lo, s21
	s_delay_alu instid0(SALU_CYCLE_1) | instskip(NEXT) | instid1(SALU_CYCLE_1)
	s_and_b32 s7, exec_lo, s7
	s_or_b32 s18, s7, s18
	s_and_not1_b32 s7, s19, exec_lo
	s_and_b32 s19, s20, exec_lo
	s_delay_alu instid0(SALU_CYCLE_1)
	s_or_b32 s19, s7, s19
	s_and_not1_b32 exec_lo, exec_lo, s18
	s_cbranch_execz .LBB2_182
.LBB2_174:                              ;   Parent Loop BB2_32 Depth=1
                                        ;     Parent Loop BB2_170 Depth=2
                                        ; =>    This Inner Loop Header: Depth=3
	s_delay_alu instid0(VALU_DEP_1)
	v_add_nc_u32_e32 v101, 1, v101
	v_mov_b32_e32 v145, 0
	s_mov_b32 s7, -1
	s_mov_b32 s22, -1
	s_mov_b32 s21, exec_lo
	;;#ASMSTART
	global_load_b128 v[17:20], v[112:113], off glc slc dlc
s_waitcnt vmcnt(0)

	;;#ASMEND
	v_cmpx_eq_u32_e32 0x2710, v101
	s_cbranch_execz .LBB2_180
; %bb.175:                              ;   in Loop: Header=BB2_174 Depth=3
	s_cbranch_execnz .LBB2_231
; %bb.176:                              ;   in Loop: Header=BB2_174 Depth=3
	ds_load_b64 v[116:117], v0
	v_mov_b32_e32 v101, 0
	v_mov_b32_e32 v145, 0
	s_mov_b32 s23, -1
	s_mov_b32 s22, exec_lo
	s_waitcnt vmcnt(0) lgkmcnt(0)
	s_waitcnt_vscnt null, 0x0
	flat_load_b32 v116, v[116:117] glc
	s_waitcnt vmcnt(0) lgkmcnt(0)
	buffer_gl1_inv
	buffer_gl0_inv
	v_cmpx_ne_u32_e32 0, v116
	s_cbranch_execz .LBB2_179
; %bb.177:                              ;   in Loop: Header=BB2_174 Depth=3
	ds_store_b32 v0, v116
	s_cbranch_execnz .LBB2_243
; %bb.178:                              ;   in Loop: Header=BB2_174 Depth=3
	v_mov_b32_e32 v145, 1
	s_xor_b32 s23, exec_lo, -1
.LBB2_179:                              ;   in Loop: Header=BB2_174 Depth=3
	s_or_b32 exec_lo, exec_lo, s22
	s_delay_alu instid0(SALU_CYCLE_1)
	s_or_not1_b32 s22, s23, exec_lo
.LBB2_180:                              ;   in Loop: Header=BB2_174 Depth=3
	s_or_b32 exec_lo, exec_lo, s21
	s_delay_alu instid0(SALU_CYCLE_1)
	s_or_b32 s20, s20, exec_lo
	s_and_saveexec_b32 s21, s22
	s_cbranch_execz .LBB2_173
; %bb.181:                              ;   in Loop: Header=BB2_174 Depth=3
	v_cmp_eq_u32_e32 vcc_lo, v64, v18
	v_cmp_eq_u32_e64 s7, v64, v20
	s_and_not1_b32 s20, s20, exec_lo
	s_delay_alu instid0(VALU_DEP_1) | instskip(NEXT) | instid1(SALU_CYCLE_1)
	s_and_b32 s7, vcc_lo, s7
	s_or_not1_b32 s7, s7, exec_lo
	s_branch .LBB2_173
.LBB2_182:                              ;   in Loop: Header=BB2_170 Depth=2
	s_or_b32 exec_lo, exec_lo, s18
	s_xor_b32 s7, s19, -1
	s_delay_alu instid0(SALU_CYCLE_1) | instskip(NEXT) | instid1(SALU_CYCLE_1)
	s_and_saveexec_b32 s18, s7
	s_xor_b32 s7, exec_lo, s18
	s_delay_alu instid0(SALU_CYCLE_1) | instskip(NEXT) | instid1(SALU_CYCLE_1)
	s_and_not1_saveexec_b32 s7, s7
	s_or_b32 exec_lo, exec_lo, s7
.LBB2_183:                              ;   in Loop: Header=BB2_170 Depth=2
	s_delay_alu instid0(SALU_CYCLE_1)
	s_or_b32 exec_lo, exec_lo, s8
.LBB2_184:                              ;   in Loop: Header=BB2_170 Depth=2
	s_delay_alu instid0(SALU_CYCLE_1)
	s_or_b32 exec_lo, exec_lo, s17
	v_xor_b32_e32 v113, v19, v28
	v_xor_b32_e32 v112, v17, v27
	s_waitcnt vmcnt(0) lgkmcnt(0)
	v_xor_b32_e32 v117, v103, v28
	v_xor_b32_e32 v116, v102, v27
	s_delay_alu instid0(VALU_DEP_1) | instskip(SKIP_2) | instid1(VALU_DEP_1)
	v_cmp_lt_u64_e32 vcc_lo, v[112:113], v[116:117]
	v_dual_mov_b32 v18, v132 :: v_dual_cndmask_b32 v17, v102, v17
	;;#ASMSTART
	;;#ASMEND
	v_cmp_ne_u32_e64 s7, 0, v18
	v_cndmask_b32_e32 v18, v103, v19, vcc_lo
	s_delay_alu instid0(VALU_DEP_2)
	s_cmp_lg_u32 s7, exec_lo
	s_mov_b32 s7, -1
	s_cbranch_scc0 .LBB2_186
; %bb.185:                              ;   in Loop: Header=BB2_170 Depth=2
	s_mov_b32 s7, 0
	flat_store_b64 v[96:97], v[17:18]
.LBB2_186:                              ;   in Loop: Header=BB2_170 Depth=2
	s_and_not1_b32 vcc_lo, exec_lo, s7
	s_cbranch_vccnz .LBB2_169
; %bb.187:                              ;   in Loop: Header=BB2_170 Depth=2
	global_store_b64 v[96:97], v[17:18], off
	s_branch .LBB2_169
.LBB2_188:                              ;   in Loop: Header=BB2_32 Depth=1
	s_or_b32 exec_lo, exec_lo, s16
.LBB2_189:                              ;   in Loop: Header=BB2_32 Depth=1
	s_delay_alu instid0(SALU_CYCLE_1)
	s_or_b32 exec_lo, exec_lo, s9
	s_and_saveexec_b32 s7, s3
	s_cbranch_execz .LBB2_211
; %bb.190:                              ;   in Loop: Header=BB2_32 Depth=1
	s_and_saveexec_b32 s8, s4
	s_delay_alu instid0(SALU_CYCLE_1)
	s_xor_b32 s8, exec_lo, s8
	s_cbranch_execz .LBB2_208
; %bb.191:                              ;   in Loop: Header=BB2_32 Depth=1
	s_and_saveexec_b32 s9, s5
	s_cbranch_execz .LBB2_207
; %bb.192:                              ;   in Loop: Header=BB2_32 Depth=1
	s_mov_b32 s17, exec_lo
	s_mov_b32 s16, exec_lo
	v_mbcnt_lo_u32_b32 v17, s17, 0
	s_waitcnt vmcnt(0) lgkmcnt(0)
	s_waitcnt_vscnt null, 0x0
	buffer_gl1_inv
	buffer_gl0_inv
	v_cmpx_eq_u32_e32 0, v17
	s_cbranch_execz .LBB2_194
; %bb.193:                              ;   in Loop: Header=BB2_32 Depth=1
	s_bcnt1_i32_b32 s17, s17
	s_delay_alu instid0(SALU_CYCLE_1)
	v_mov_b32_e32 v64, s17
	ds_add_u64 v0, v[64:65]
	s_cbranch_execnz .LBB2_280
.LBB2_194:                              ;   in Loop: Header=BB2_32 Depth=1
	s_or_b32 exec_lo, exec_lo, s16
	s_cbranch_execnz .LBB2_268
; %bb.195:                              ;   in Loop: Header=BB2_32 Depth=1
	ds_load_b64 v[17:18], v0
	v_add_co_u32 v2, vcc_lo, v2, v118
	v_add_co_ci_u32_e32 v3, vcc_lo, v3, v119, vcc_lo
	s_mov_b32 s16, exec_lo
	s_waitcnt lgkmcnt(0)
	s_delay_alu instid0(VALU_DEP_1)
	v_cmpx_lt_u64_e64 v[17:18], v[2:3]
	s_cbranch_execz .LBB2_206
; %bb.196:                              ;   in Loop: Header=BB2_32 Depth=1
	s_mov_b32 s17, 0
	s_mov_b32 s20, 0
                                        ; implicit-def: $sgpr18
                                        ; implicit-def: $sgpr19
	s_branch .LBB2_198
.LBB2_197:                              ;   in Loop: Header=BB2_198 Depth=2
	s_or_b32 exec_lo, exec_lo, s23
	s_delay_alu instid0(SALU_CYCLE_1) | instskip(NEXT) | instid1(SALU_CYCLE_1)
	s_and_b32 s21, exec_lo, s22
	s_or_b32 s17, s21, s17
	s_and_not1_b32 s18, s18, exec_lo
	s_and_b32 s21, s19, exec_lo
	s_delay_alu instid0(SALU_CYCLE_1)
	s_or_b32 s18, s18, s21
	s_and_not1_b32 exec_lo, exec_lo, s17
	s_cbranch_execz .LBB2_204
.LBB2_198:                              ;   Parent Loop BB2_32 Depth=1
                                        ; =>  This Inner Loop Header: Depth=2
	s_add_i32 s20, s20, 1
                                        ; implicit-def: $sgpr22
	s_delay_alu instid0(SALU_CYCLE_1) | instskip(SKIP_1) | instid1(SALU_CYCLE_1)
	s_cmpk_lg_i32 s20, 0x2710
	s_cselect_b32 s21, -1, 0
	s_and_b32 vcc_lo, exec_lo, s21
	s_cbranch_vccz .LBB2_202
.LBB2_199:                              ;   in Loop: Header=BB2_198 Depth=2
	s_and_not1_b32 s19, s19, exec_lo
	s_and_b32 s23, s22, exec_lo
	s_mov_b32 s22, -1
	s_or_b32 s19, s19, s23
	s_and_saveexec_b32 s23, s21
	s_cbranch_execz .LBB2_197
; %bb.200:                              ;   in Loop: Header=BB2_198 Depth=2
	s_sleep 1
	s_cbranch_execnz .LBB2_288
; %bb.201:                              ;   in Loop: Header=BB2_198 Depth=2
	ds_load_b64 v[17:18], v0
	s_and_not1_b32 s19, s19, exec_lo
	s_waitcnt lgkmcnt(0)
	v_cmp_ge_u64_e32 vcc_lo, v[17:18], v[2:3]
	s_or_not1_b32 s22, vcc_lo, exec_lo
	s_branch .LBB2_197
.LBB2_202:                              ;   in Loop: Header=BB2_198 Depth=2
	s_cbranch_execnz .LBB2_290
; %bb.203:                              ;   in Loop: Header=BB2_198 Depth=2
	ds_load_b64 v[17:18], v0
	s_and_not1_b32 s21, s21, exec_lo
	s_mov_b32 s20, 0
	s_mov_b32 s22, -1
	s_waitcnt lgkmcnt(0)
	flat_load_b32 v17, v[17:18] glc
	s_waitcnt vmcnt(0) lgkmcnt(0)
	buffer_gl1_inv
	buffer_gl0_inv
	v_cmp_eq_u32_e32 vcc_lo, 0, v17
	s_and_b32 s23, vcc_lo, exec_lo
	s_delay_alu instid0(SALU_CYCLE_1)
	s_or_b32 s21, s21, s23
	s_branch .LBB2_199
.LBB2_204:                              ;   in Loop: Header=BB2_32 Depth=1
	s_or_b32 exec_lo, exec_lo, s17
	s_and_saveexec_b32 s17, s18
	s_delay_alu instid0(SALU_CYCLE_1)
	s_xor_b32 s17, exec_lo, s17
	s_cbranch_execz .LBB2_206
; %bb.205:                              ;   in Loop: Header=BB2_32 Depth=1
	ds_store_b32 v0, v144
	s_cbranch_execnz .LBB2_307
.LBB2_206:                              ;   in Loop: Header=BB2_32 Depth=1
	s_or_b32 exec_lo, exec_lo, s16
	;;#ASMSTART
	s_wakeup
	;;#ASMEND
.LBB2_207:                              ;   in Loop: Header=BB2_32 Depth=1
	s_or_b32 exec_lo, exec_lo, s9
.LBB2_208:                              ;   in Loop: Header=BB2_32 Depth=1
	s_and_not1_saveexec_b32 s8, s8
	s_cbranch_execz .LBB2_210
; %bb.209:                              ;   in Loop: Header=BB2_32 Depth=1
	s_waitcnt vmcnt(0) lgkmcnt(0)
	s_waitcnt_vscnt null, 0x0
	buffer_gl1_inv
	buffer_gl0_inv
	s_barrier
.LBB2_210:                              ;   in Loop: Header=BB2_32 Depth=1
	s_or_b32 exec_lo, exec_lo, s8
.LBB2_211:                              ;   in Loop: Header=BB2_32 Depth=1
	s_delay_alu instid0(SALU_CYCLE_1)
	s_or_b32 exec_lo, exec_lo, s7
	s_and_saveexec_b32 s7, s6
	s_cbranch_execz .LBB2_213
; %bb.212:                              ;   in Loop: Header=BB2_32 Depth=1
	v_add_co_u32 v50, vcc_lo, v50, 1
	v_add_co_ci_u32_e32 v51, vcc_lo, 0, v51, vcc_lo
	s_waitcnt vmcnt(0) lgkmcnt(0)
	s_waitcnt_vscnt null, 0x0
	flat_store_b64 v[38:39], v[50:51]
.LBB2_213:                              ;   in Loop: Header=BB2_32 Depth=1
	s_or_b32 exec_lo, exec_lo, s7
	v_add_co_u32 v84, vcc_lo, v84, v66
	v_add_co_ci_u32_e32 v85, vcc_lo, 0, v85, vcc_lo
	v_add_co_u32 v34, vcc_lo, v34, 1
	v_add_co_ci_u32_e32 v35, vcc_lo, 0, v35, vcc_lo
	s_delay_alu instid0(VALU_DEP_3) | instskip(SKIP_1) | instid1(VALU_DEP_1)
	v_cmp_ge_u64_e32 vcc_lo, v[84:85], v[7:8]
	v_add_co_u32 v9, s7, v9, v133
	v_add_co_ci_u32_e64 v10, s7, 0, v10, s7
	s_or_b32 s11, vcc_lo, s11
	s_delay_alu instid0(SALU_CYCLE_1)
	s_and_not1_b32 exec_lo, exec_lo, s11
	s_cbranch_execnz .LBB2_32
; %bb.214:
	s_or_b32 exec_lo, exec_lo, s11
.LBB2_215:
	s_delay_alu instid0(SALU_CYCLE_1)
	s_or_b32 exec_lo, exec_lo, s13
	s_and_saveexec_b32 s1, s12
	s_cbranch_execz .LBB2_217
; %bb.216:
	s_waitcnt vmcnt(0) lgkmcnt(0)
	flat_store_b64 v[29:30], v[50:51] offset:104
.LBB2_217:
	s_or_b32 exec_lo, exec_lo, s1
	s_and_saveexec_b32 s1, s0
	s_cbranch_execz .LBB2_219
; %bb.218:
	s_waitcnt vmcnt(0) lgkmcnt(0)
	flat_store_b64 v[36:37], v[15:16] offset:104
.LBB2_219:
	s_or_b32 exec_lo, exec_lo, s1
	s_delay_alu instid0(SALU_CYCLE_1)
	s_mov_b32 s0, exec_lo
	v_cmpx_ne_u32_e32 32, v1
	s_cbranch_execz .LBB2_298
; %bb.220:
	s_mov_b32 s1, exec_lo
	v_cmpx_ne_u32_e64 v0, v1
	s_xor_b32 s1, exec_lo, s1
	s_cbranch_execz .LBB2_296
; %bb.221:
	v_and_b32_e32 v0, 31, v31
	s_mov_b32 s2, exec_lo
	s_delay_alu instid0(VALU_DEP_1)
	v_cmpx_eq_u32_e32 0, v0
	s_cbranch_execz .LBB2_295
; %bb.222:
	s_mov_b32 s4, exec_lo
	s_mov_b32 s3, exec_lo
	v_mbcnt_lo_u32_b32 v0, s4, 0
	s_waitcnt vmcnt(0) lgkmcnt(0)
	s_waitcnt_vscnt null, 0x0
	buffer_gl1_inv
	buffer_gl0_inv
	v_cmpx_eq_u32_e32 0, v0
	s_cbranch_execz .LBB2_224
; %bb.223:
	s_bcnt1_i32_b32 s4, s4
	s_delay_alu instid0(SALU_CYCLE_1)
	v_dual_mov_b32 v5, 0 :: v_dual_mov_b32 v4, s4
	ds_add_u64 v0, v[4:5]
	s_cbranch_execnz .LBB2_256
.LBB2_224:
	s_or_b32 exec_lo, exec_lo, s3
	s_cbranch_execnz .LBB2_241
; %bb.225:
	v_ashrrev_i32_e32 v0, 31, v1
	s_mov_b32 s3, exec_lo
	s_delay_alu instid0(VALU_DEP_1) | instskip(NEXT) | instid1(VALU_DEP_1)
	v_lshrrev_b32_e32 v0, 27, v0
	v_add_nc_u32_e32 v0, v1, v0
	ds_load_b64 v[4:5], v0
	v_ashrrev_i32_e32 v0, 5, v0
	s_delay_alu instid0(VALU_DEP_1) | instskip(SKIP_1) | instid1(VALU_DEP_2)
	v_ashrrev_i32_e32 v1, 31, v0
	v_add_co_u32 v0, vcc_lo, v2, v0
	v_add_co_ci_u32_e32 v1, vcc_lo, v3, v1, vcc_lo
	s_waitcnt lgkmcnt(0)
	s_delay_alu instid0(VALU_DEP_1)
	v_cmpx_lt_u64_e64 v[4:5], v[0:1]
	s_cbranch_execz .LBB2_294
; %bb.226:
	s_mov_b32 s4, 0
	s_mov_b32 s7, 0
                                        ; implicit-def: $sgpr5
                                        ; implicit-def: $sgpr6
	s_branch .LBB2_246
.LBB2_227:
	s_trap 2
	s_sendmsg_rtn_b32 s0, sendmsg(MSG_RTN_GET_DOORBELL)
	s_mov_b32 ttmp2, m0
	s_waitcnt lgkmcnt(0)
	s_and_b32 s0, s0, 0x3ff
	s_delay_alu instid0(SALU_CYCLE_1) | instskip(NEXT) | instid1(SALU_CYCLE_1)
	s_bitset1_b32 s0, 10
	s_mov_b32 m0, s0
	s_sendmsg sendmsg(MSG_INTERRUPT)
	s_mov_b32 m0, ttmp2
.LBB2_228:                              ; =>This Inner Loop Header: Depth=1
	s_sethalt 5
	s_branch .LBB2_228
.LBB2_229:
	s_trap 2
	s_sendmsg_rtn_b32 s0, sendmsg(MSG_RTN_GET_DOORBELL)
	s_mov_b32 ttmp2, m0
	s_waitcnt lgkmcnt(0)
	s_and_b32 s0, s0, 0x3ff
	s_delay_alu instid0(SALU_CYCLE_1) | instskip(NEXT) | instid1(SALU_CYCLE_1)
	s_bitset1_b32 s0, 10
	s_mov_b32 m0, s0
	s_sendmsg sendmsg(MSG_INTERRUPT)
	s_mov_b32 m0, ttmp2
.LBB2_230:                              ; =>This Inner Loop Header: Depth=1
	s_sethalt 5
	s_branch .LBB2_230
.LBB2_231:
	s_trap 2
	s_sendmsg_rtn_b32 s0, sendmsg(MSG_RTN_GET_DOORBELL)
	s_mov_b32 ttmp2, m0
	s_waitcnt lgkmcnt(0)
	s_and_b32 s0, s0, 0x3ff
	s_delay_alu instid0(SALU_CYCLE_1) | instskip(NEXT) | instid1(SALU_CYCLE_1)
	s_bitset1_b32 s0, 10
	s_mov_b32 m0, s0
	s_sendmsg sendmsg(MSG_INTERRUPT)
	s_mov_b32 m0, ttmp2
.LBB2_232:                              ; =>This Inner Loop Header: Depth=1
	s_sethalt 5
	s_branch .LBB2_232
.LBB2_233:
	s_trap 2
	s_sendmsg_rtn_b32 s0, sendmsg(MSG_RTN_GET_DOORBELL)
	s_mov_b32 ttmp2, m0
	s_waitcnt lgkmcnt(0)
	s_and_b32 s0, s0, 0x3ff
	s_delay_alu instid0(SALU_CYCLE_1) | instskip(NEXT) | instid1(SALU_CYCLE_1)
	s_bitset1_b32 s0, 10
	s_mov_b32 m0, s0
	s_sendmsg sendmsg(MSG_INTERRUPT)
	s_mov_b32 m0, ttmp2
.LBB2_234:                              ; =>This Inner Loop Header: Depth=1
	s_sethalt 5
	s_branch .LBB2_234
.LBB2_235:
	s_trap 2
	s_sendmsg_rtn_b32 s0, sendmsg(MSG_RTN_GET_DOORBELL)
	s_mov_b32 ttmp2, m0
	s_waitcnt lgkmcnt(0)
	s_and_b32 s0, s0, 0x3ff
	s_delay_alu instid0(SALU_CYCLE_1) | instskip(NEXT) | instid1(SALU_CYCLE_1)
	s_bitset1_b32 s0, 10
	s_mov_b32 m0, s0
	s_sendmsg sendmsg(MSG_INTERRUPT)
	s_mov_b32 m0, ttmp2
.LBB2_236:                              ; =>This Inner Loop Header: Depth=1
	s_sethalt 5
	s_branch .LBB2_236
.LBB2_237:
	s_trap 2
	s_sendmsg_rtn_b32 s0, sendmsg(MSG_RTN_GET_DOORBELL)
	s_mov_b32 ttmp2, m0
	s_waitcnt lgkmcnt(0)
	s_and_b32 s0, s0, 0x3ff
	s_delay_alu instid0(SALU_CYCLE_1) | instskip(NEXT) | instid1(SALU_CYCLE_1)
	s_bitset1_b32 s0, 10
	s_mov_b32 m0, s0
	s_sendmsg sendmsg(MSG_INTERRUPT)
	s_mov_b32 m0, ttmp2
.LBB2_238:                              ; =>This Inner Loop Header: Depth=1
	s_sethalt 5
	s_branch .LBB2_238
.LBB2_239:
	s_trap 2
	s_sendmsg_rtn_b32 s0, sendmsg(MSG_RTN_GET_DOORBELL)
	s_mov_b32 ttmp2, m0
	s_waitcnt lgkmcnt(0)
	s_and_b32 s0, s0, 0x3ff
	s_delay_alu instid0(SALU_CYCLE_1) | instskip(NEXT) | instid1(SALU_CYCLE_1)
	s_bitset1_b32 s0, 10
	s_mov_b32 m0, s0
	s_sendmsg sendmsg(MSG_INTERRUPT)
	s_mov_b32 m0, ttmp2
.LBB2_240:                              ; =>This Inner Loop Header: Depth=1
	s_sethalt 5
	s_branch .LBB2_240
.LBB2_241:
	s_trap 2
	s_sendmsg_rtn_b32 s0, sendmsg(MSG_RTN_GET_DOORBELL)
	s_mov_b32 ttmp2, m0
	s_waitcnt lgkmcnt(0)
	s_and_b32 s0, s0, 0x3ff
	s_delay_alu instid0(SALU_CYCLE_1) | instskip(NEXT) | instid1(SALU_CYCLE_1)
	s_bitset1_b32 s0, 10
	s_mov_b32 m0, s0
	s_sendmsg sendmsg(MSG_INTERRUPT)
	s_mov_b32 m0, ttmp2
.LBB2_242:                              ; =>This Inner Loop Header: Depth=1
	s_sethalt 5
	s_branch .LBB2_242
.LBB2_243:
	s_trap 2
	s_sendmsg_rtn_b32 s0, sendmsg(MSG_RTN_GET_DOORBELL)
	s_mov_b32 ttmp2, m0
	s_waitcnt lgkmcnt(0)
	s_and_b32 s0, s0, 0x3ff
	s_delay_alu instid0(SALU_CYCLE_1) | instskip(NEXT) | instid1(SALU_CYCLE_1)
	s_bitset1_b32 s0, 10
	s_mov_b32 m0, s0
	s_sendmsg sendmsg(MSG_INTERRUPT)
	s_mov_b32 m0, ttmp2
.LBB2_244:                              ; =>This Inner Loop Header: Depth=1
	s_sethalt 5
	s_branch .LBB2_244
.LBB2_245:                              ;   in Loop: Header=BB2_246 Depth=1
	s_or_b32 exec_lo, exec_lo, s10
	s_delay_alu instid0(SALU_CYCLE_1) | instskip(NEXT) | instid1(SALU_CYCLE_1)
	s_and_b32 s8, exec_lo, s9
	s_or_b32 s4, s8, s4
	s_and_not1_b32 s5, s5, exec_lo
	s_and_b32 s8, s6, exec_lo
	s_delay_alu instid0(SALU_CYCLE_1)
	s_or_b32 s5, s5, s8
	s_and_not1_b32 exec_lo, exec_lo, s4
	s_cbranch_execz .LBB2_292
.LBB2_246:                              ; =>This Inner Loop Header: Depth=1
	s_add_i32 s7, s7, 1
                                        ; implicit-def: $sgpr9
	s_delay_alu instid0(SALU_CYCLE_1) | instskip(SKIP_1) | instid1(SALU_CYCLE_1)
	s_cmpk_lg_i32 s7, 0x2710
	s_cselect_b32 s8, -1, 0
	s_and_b32 vcc_lo, exec_lo, s8
	s_cbranch_vccz .LBB2_250
.LBB2_247:                              ;   in Loop: Header=BB2_246 Depth=1
	s_and_not1_b32 s6, s6, exec_lo
	s_and_b32 s10, s9, exec_lo
	s_mov_b32 s9, -1
	s_or_b32 s6, s6, s10
	s_and_saveexec_b32 s10, s8
	s_cbranch_execz .LBB2_245
; %bb.248:                              ;   in Loop: Header=BB2_246 Depth=1
	s_sleep 1
	s_cbranch_execnz .LBB2_270
; %bb.249:                              ;   in Loop: Header=BB2_246 Depth=1
	ds_load_b64 v[2:3], v0
	s_and_not1_b32 s6, s6, exec_lo
	s_waitcnt lgkmcnt(0)
	v_cmp_ge_u64_e32 vcc_lo, v[2:3], v[0:1]
	s_or_not1_b32 s9, vcc_lo, exec_lo
	s_branch .LBB2_245
.LBB2_250:                              ;   in Loop: Header=BB2_246 Depth=1
	s_cbranch_execnz .LBB2_276
; %bb.251:                              ;   in Loop: Header=BB2_246 Depth=1
	ds_load_b64 v[2:3], v0
	s_and_not1_b32 s8, s8, exec_lo
	s_mov_b32 s7, 0
	s_mov_b32 s9, -1
	s_waitcnt lgkmcnt(0)
	flat_load_b32 v2, v[2:3] glc
	s_waitcnt vmcnt(0) lgkmcnt(0)
	buffer_gl1_inv
	buffer_gl0_inv
	v_cmp_eq_u32_e32 vcc_lo, 0, v2
	s_and_b32 s10, vcc_lo, exec_lo
	s_delay_alu instid0(SALU_CYCLE_1)
	s_or_b32 s8, s8, s10
	s_branch .LBB2_247
.LBB2_252:
	s_trap 2
	s_sendmsg_rtn_b32 s0, sendmsg(MSG_RTN_GET_DOORBELL)
	s_mov_b32 ttmp2, m0
	s_waitcnt lgkmcnt(0)
	s_and_b32 s0, s0, 0x3ff
	s_delay_alu instid0(SALU_CYCLE_1) | instskip(NEXT) | instid1(SALU_CYCLE_1)
	s_bitset1_b32 s0, 10
	s_mov_b32 m0, s0
	s_sendmsg sendmsg(MSG_INTERRUPT)
	s_mov_b32 m0, ttmp2
.LBB2_253:                              ; =>This Inner Loop Header: Depth=1
	s_sethalt 5
	s_branch .LBB2_253
.LBB2_254:
	s_trap 2
	s_sendmsg_rtn_b32 s0, sendmsg(MSG_RTN_GET_DOORBELL)
	s_mov_b32 ttmp2, m0
	s_waitcnt lgkmcnt(0)
	s_and_b32 s0, s0, 0x3ff
	s_delay_alu instid0(SALU_CYCLE_1) | instskip(NEXT) | instid1(SALU_CYCLE_1)
	s_bitset1_b32 s0, 10
	s_mov_b32 m0, s0
	s_sendmsg sendmsg(MSG_INTERRUPT)
	s_mov_b32 m0, ttmp2
.LBB2_255:                              ; =>This Inner Loop Header: Depth=1
	s_sethalt 5
	s_branch .LBB2_255
.LBB2_256:
	s_trap 2
	s_sendmsg_rtn_b32 s0, sendmsg(MSG_RTN_GET_DOORBELL)
	s_mov_b32 ttmp2, m0
	s_waitcnt lgkmcnt(0)
	s_and_b32 s0, s0, 0x3ff
	s_delay_alu instid0(SALU_CYCLE_1) | instskip(NEXT) | instid1(SALU_CYCLE_1)
	s_bitset1_b32 s0, 10
	s_mov_b32 m0, s0
	s_sendmsg sendmsg(MSG_INTERRUPT)
	s_mov_b32 m0, ttmp2
.LBB2_257:                              ; =>This Inner Loop Header: Depth=1
	s_sethalt 5
	s_branch .LBB2_257
.LBB2_258:
	s_trap 2
	s_sendmsg_rtn_b32 s0, sendmsg(MSG_RTN_GET_DOORBELL)
	s_mov_b32 ttmp2, m0
	s_waitcnt lgkmcnt(0)
	s_and_b32 s0, s0, 0x3ff
	s_delay_alu instid0(SALU_CYCLE_1) | instskip(NEXT) | instid1(SALU_CYCLE_1)
	s_bitset1_b32 s0, 10
	s_mov_b32 m0, s0
	s_sendmsg sendmsg(MSG_INTERRUPT)
	s_mov_b32 m0, ttmp2
.LBB2_259:                              ; =>This Inner Loop Header: Depth=1
	s_sethalt 5
	s_branch .LBB2_259
.LBB2_260:
	s_trap 2
	s_sendmsg_rtn_b32 s0, sendmsg(MSG_RTN_GET_DOORBELL)
	s_mov_b32 ttmp2, m0
	s_waitcnt lgkmcnt(0)
	s_and_b32 s0, s0, 0x3ff
	s_delay_alu instid0(SALU_CYCLE_1) | instskip(NEXT) | instid1(SALU_CYCLE_1)
	s_bitset1_b32 s0, 10
	s_mov_b32 m0, s0
	s_sendmsg sendmsg(MSG_INTERRUPT)
	s_mov_b32 m0, ttmp2
.LBB2_261:                              ; =>This Inner Loop Header: Depth=1
	s_sethalt 5
	s_branch .LBB2_261
.LBB2_262:
	s_trap 2
	s_sendmsg_rtn_b32 s0, sendmsg(MSG_RTN_GET_DOORBELL)
	s_mov_b32 ttmp2, m0
	s_waitcnt lgkmcnt(0)
	s_and_b32 s0, s0, 0x3ff
	s_delay_alu instid0(SALU_CYCLE_1) | instskip(NEXT) | instid1(SALU_CYCLE_1)
	s_bitset1_b32 s0, 10
	s_mov_b32 m0, s0
	s_sendmsg sendmsg(MSG_INTERRUPT)
	s_mov_b32 m0, ttmp2
.LBB2_263:                              ; =>This Inner Loop Header: Depth=1
	s_sethalt 5
	s_branch .LBB2_263
.LBB2_264:
	s_trap 2
	s_sendmsg_rtn_b32 s0, sendmsg(MSG_RTN_GET_DOORBELL)
	s_mov_b32 ttmp2, m0
	s_waitcnt lgkmcnt(0)
	s_and_b32 s0, s0, 0x3ff
	s_delay_alu instid0(SALU_CYCLE_1) | instskip(NEXT) | instid1(SALU_CYCLE_1)
	s_bitset1_b32 s0, 10
	s_mov_b32 m0, s0
	s_sendmsg sendmsg(MSG_INTERRUPT)
	s_mov_b32 m0, ttmp2
.LBB2_265:                              ; =>This Inner Loop Header: Depth=1
	s_sethalt 5
	s_branch .LBB2_265
.LBB2_266:
	s_trap 2
	s_sendmsg_rtn_b32 s0, sendmsg(MSG_RTN_GET_DOORBELL)
	s_mov_b32 ttmp2, m0
	s_waitcnt lgkmcnt(0)
	s_and_b32 s0, s0, 0x3ff
	s_delay_alu instid0(SALU_CYCLE_1) | instskip(NEXT) | instid1(SALU_CYCLE_1)
	s_bitset1_b32 s0, 10
	s_mov_b32 m0, s0
	s_sendmsg sendmsg(MSG_INTERRUPT)
	s_mov_b32 m0, ttmp2
.LBB2_267:                              ; =>This Inner Loop Header: Depth=1
	s_sethalt 5
	s_branch .LBB2_267
.LBB2_268:
	s_trap 2
	s_sendmsg_rtn_b32 s0, sendmsg(MSG_RTN_GET_DOORBELL)
	s_mov_b32 ttmp2, m0
	s_waitcnt lgkmcnt(0)
	s_and_b32 s0, s0, 0x3ff
	s_delay_alu instid0(SALU_CYCLE_1) | instskip(NEXT) | instid1(SALU_CYCLE_1)
	s_bitset1_b32 s0, 10
	s_mov_b32 m0, s0
	s_sendmsg sendmsg(MSG_INTERRUPT)
	s_mov_b32 m0, ttmp2
.LBB2_269:                              ; =>This Inner Loop Header: Depth=1
	s_sethalt 5
	s_branch .LBB2_269
.LBB2_270:
	s_trap 2
	s_sendmsg_rtn_b32 s0, sendmsg(MSG_RTN_GET_DOORBELL)
	s_mov_b32 ttmp2, m0
	s_waitcnt lgkmcnt(0)
	s_and_b32 s0, s0, 0x3ff
	s_delay_alu instid0(SALU_CYCLE_1) | instskip(NEXT) | instid1(SALU_CYCLE_1)
	s_bitset1_b32 s0, 10
	s_mov_b32 m0, s0
	s_sendmsg sendmsg(MSG_INTERRUPT)
	s_mov_b32 m0, ttmp2
.LBB2_271:                              ; =>This Inner Loop Header: Depth=1
	s_sethalt 5
	s_branch .LBB2_271
.LBB2_272:
	s_trap 2
	s_sendmsg_rtn_b32 s0, sendmsg(MSG_RTN_GET_DOORBELL)
	s_mov_b32 ttmp2, m0
	s_waitcnt lgkmcnt(0)
	s_and_b32 s0, s0, 0x3ff
	s_delay_alu instid0(SALU_CYCLE_1) | instskip(NEXT) | instid1(SALU_CYCLE_1)
	s_bitset1_b32 s0, 10
	s_mov_b32 m0, s0
	s_sendmsg sendmsg(MSG_INTERRUPT)
	s_mov_b32 m0, ttmp2
.LBB2_273:                              ; =>This Inner Loop Header: Depth=1
	s_sethalt 5
	s_branch .LBB2_273
.LBB2_274:
	s_trap 2
	s_sendmsg_rtn_b32 s0, sendmsg(MSG_RTN_GET_DOORBELL)
	s_mov_b32 ttmp2, m0
	s_waitcnt lgkmcnt(0)
	s_and_b32 s0, s0, 0x3ff
	s_delay_alu instid0(SALU_CYCLE_1) | instskip(NEXT) | instid1(SALU_CYCLE_1)
	s_bitset1_b32 s0, 10
	s_mov_b32 m0, s0
	s_sendmsg sendmsg(MSG_INTERRUPT)
	s_mov_b32 m0, ttmp2
.LBB2_275:                              ; =>This Inner Loop Header: Depth=1
	s_sethalt 5
	s_branch .LBB2_275
.LBB2_276:
	s_trap 2
	s_sendmsg_rtn_b32 s0, sendmsg(MSG_RTN_GET_DOORBELL)
	s_mov_b32 ttmp2, m0
	s_waitcnt lgkmcnt(0)
	s_and_b32 s0, s0, 0x3ff
	s_delay_alu instid0(SALU_CYCLE_1) | instskip(NEXT) | instid1(SALU_CYCLE_1)
	s_bitset1_b32 s0, 10
	s_mov_b32 m0, s0
	s_sendmsg sendmsg(MSG_INTERRUPT)
	s_mov_b32 m0, ttmp2
.LBB2_277:                              ; =>This Inner Loop Header: Depth=1
	s_sethalt 5
	s_branch .LBB2_277
.LBB2_278:
	s_trap 2
	s_sendmsg_rtn_b32 s0, sendmsg(MSG_RTN_GET_DOORBELL)
	s_mov_b32 ttmp2, m0
	s_waitcnt lgkmcnt(0)
	s_and_b32 s0, s0, 0x3ff
	s_delay_alu instid0(SALU_CYCLE_1) | instskip(NEXT) | instid1(SALU_CYCLE_1)
	s_bitset1_b32 s0, 10
	s_mov_b32 m0, s0
	s_sendmsg sendmsg(MSG_INTERRUPT)
	s_mov_b32 m0, ttmp2
.LBB2_279:                              ; =>This Inner Loop Header: Depth=1
	s_sethalt 5
	s_branch .LBB2_279
.LBB2_280:
	s_trap 2
	s_sendmsg_rtn_b32 s0, sendmsg(MSG_RTN_GET_DOORBELL)
	s_mov_b32 ttmp2, m0
	s_waitcnt lgkmcnt(0)
	s_and_b32 s0, s0, 0x3ff
	s_delay_alu instid0(SALU_CYCLE_1) | instskip(NEXT) | instid1(SALU_CYCLE_1)
	s_bitset1_b32 s0, 10
	s_mov_b32 m0, s0
	s_sendmsg sendmsg(MSG_INTERRUPT)
	s_mov_b32 m0, ttmp2
.LBB2_281:                              ; =>This Inner Loop Header: Depth=1
	s_sethalt 5
	s_branch .LBB2_281
.LBB2_282:
	s_trap 2
	s_sendmsg_rtn_b32 s0, sendmsg(MSG_RTN_GET_DOORBELL)
	s_mov_b32 ttmp2, m0
	s_waitcnt lgkmcnt(0)
	s_and_b32 s0, s0, 0x3ff
	s_delay_alu instid0(SALU_CYCLE_1) | instskip(NEXT) | instid1(SALU_CYCLE_1)
	s_bitset1_b32 s0, 10
	s_mov_b32 m0, s0
	s_sendmsg sendmsg(MSG_INTERRUPT)
	s_mov_b32 m0, ttmp2
.LBB2_283:                              ; =>This Inner Loop Header: Depth=1
	s_sethalt 5
	s_branch .LBB2_283
.LBB2_284:
	s_trap 2
	s_sendmsg_rtn_b32 s0, sendmsg(MSG_RTN_GET_DOORBELL)
	s_mov_b32 ttmp2, m0
	s_waitcnt lgkmcnt(0)
	s_and_b32 s0, s0, 0x3ff
	s_delay_alu instid0(SALU_CYCLE_1) | instskip(NEXT) | instid1(SALU_CYCLE_1)
	s_bitset1_b32 s0, 10
	s_mov_b32 m0, s0
	s_sendmsg sendmsg(MSG_INTERRUPT)
	s_mov_b32 m0, ttmp2
.LBB2_285:                              ; =>This Inner Loop Header: Depth=1
	s_sethalt 5
	s_branch .LBB2_285
.LBB2_286:
	s_trap 2
	s_sendmsg_rtn_b32 s0, sendmsg(MSG_RTN_GET_DOORBELL)
	s_mov_b32 ttmp2, m0
	s_waitcnt lgkmcnt(0)
	s_and_b32 s0, s0, 0x3ff
	s_delay_alu instid0(SALU_CYCLE_1) | instskip(NEXT) | instid1(SALU_CYCLE_1)
	s_bitset1_b32 s0, 10
	s_mov_b32 m0, s0
	s_sendmsg sendmsg(MSG_INTERRUPT)
	s_mov_b32 m0, ttmp2
.LBB2_287:                              ; =>This Inner Loop Header: Depth=1
	s_sethalt 5
	s_branch .LBB2_287
.LBB2_288:
	s_trap 2
	s_sendmsg_rtn_b32 s0, sendmsg(MSG_RTN_GET_DOORBELL)
	s_mov_b32 ttmp2, m0
	s_waitcnt lgkmcnt(0)
	s_and_b32 s0, s0, 0x3ff
	s_delay_alu instid0(SALU_CYCLE_1) | instskip(NEXT) | instid1(SALU_CYCLE_1)
	s_bitset1_b32 s0, 10
	s_mov_b32 m0, s0
	s_sendmsg sendmsg(MSG_INTERRUPT)
	s_mov_b32 m0, ttmp2
.LBB2_289:                              ; =>This Inner Loop Header: Depth=1
	s_sethalt 5
	s_branch .LBB2_289
.LBB2_290:
	s_trap 2
	s_sendmsg_rtn_b32 s0, sendmsg(MSG_RTN_GET_DOORBELL)
	s_mov_b32 ttmp2, m0
	s_waitcnt lgkmcnt(0)
	s_and_b32 s0, s0, 0x3ff
	s_delay_alu instid0(SALU_CYCLE_1) | instskip(NEXT) | instid1(SALU_CYCLE_1)
	s_bitset1_b32 s0, 10
	s_mov_b32 m0, s0
	s_sendmsg sendmsg(MSG_INTERRUPT)
	s_mov_b32 m0, ttmp2
.LBB2_291:                              ; =>This Inner Loop Header: Depth=1
	s_sethalt 5
	s_branch .LBB2_291
.LBB2_292:
	s_or_b32 exec_lo, exec_lo, s4
	s_and_saveexec_b32 s4, s5
	s_delay_alu instid0(SALU_CYCLE_1)
	s_xor_b32 s4, exec_lo, s4
	s_cbranch_execz .LBB2_294
; %bb.293:
	v_mov_b32_e32 v0, 1
	ds_store_b32 v0, v0
	s_cbranch_execnz .LBB2_301
.LBB2_294:
	s_or_b32 exec_lo, exec_lo, s3
	;;#ASMSTART
	s_wakeup
	;;#ASMEND
.LBB2_295:
	s_or_b32 exec_lo, exec_lo, s2
.LBB2_296:
	s_and_not1_saveexec_b32 s1, s1
	s_cbranch_execz .LBB2_298
; %bb.297:
	s_waitcnt vmcnt(0) lgkmcnt(0)
	s_waitcnt_vscnt null, 0x0
	buffer_gl1_inv
	buffer_gl0_inv
	s_barrier
.LBB2_298:
	s_or_b32 exec_lo, exec_lo, s0
	s_waitcnt vmcnt(0) lgkmcnt(0)
	s_setpc_b64 s[30:31]
.LBB2_299:
	s_trap 2
	s_sendmsg_rtn_b32 s0, sendmsg(MSG_RTN_GET_DOORBELL)
	s_mov_b32 ttmp2, m0
	s_waitcnt lgkmcnt(0)
	s_and_b32 s0, s0, 0x3ff
	s_delay_alu instid0(SALU_CYCLE_1) | instskip(NEXT) | instid1(SALU_CYCLE_1)
	s_bitset1_b32 s0, 10
	s_mov_b32 m0, s0
	s_sendmsg sendmsg(MSG_INTERRUPT)
	s_mov_b32 m0, ttmp2
.LBB2_300:                              ; =>This Inner Loop Header: Depth=1
	s_sethalt 5
	s_branch .LBB2_300
.LBB2_301:
	s_trap 2
	s_sendmsg_rtn_b32 s0, sendmsg(MSG_RTN_GET_DOORBELL)
	s_mov_b32 ttmp2, m0
	s_waitcnt lgkmcnt(0)
	s_and_b32 s0, s0, 0x3ff
	s_delay_alu instid0(SALU_CYCLE_1) | instskip(NEXT) | instid1(SALU_CYCLE_1)
	s_bitset1_b32 s0, 10
	s_mov_b32 m0, s0
	s_sendmsg sendmsg(MSG_INTERRUPT)
	s_mov_b32 m0, ttmp2
.LBB2_302:                              ; =>This Inner Loop Header: Depth=1
	s_sethalt 5
	s_branch .LBB2_302
.LBB2_303:
	s_trap 2
	s_sendmsg_rtn_b32 s0, sendmsg(MSG_RTN_GET_DOORBELL)
	s_mov_b32 ttmp2, m0
	s_waitcnt lgkmcnt(0)
	s_and_b32 s0, s0, 0x3ff
	s_delay_alu instid0(SALU_CYCLE_1) | instskip(NEXT) | instid1(SALU_CYCLE_1)
	s_bitset1_b32 s0, 10
	s_mov_b32 m0, s0
	s_sendmsg sendmsg(MSG_INTERRUPT)
	s_mov_b32 m0, ttmp2
.LBB2_304:                              ; =>This Inner Loop Header: Depth=1
	s_sethalt 5
	s_branch .LBB2_304
.LBB2_305:
	s_trap 2
	s_sendmsg_rtn_b32 s0, sendmsg(MSG_RTN_GET_DOORBELL)
	s_mov_b32 ttmp2, m0
	s_waitcnt lgkmcnt(0)
	s_and_b32 s0, s0, 0x3ff
	s_delay_alu instid0(SALU_CYCLE_1) | instskip(NEXT) | instid1(SALU_CYCLE_1)
	s_bitset1_b32 s0, 10
	s_mov_b32 m0, s0
	s_sendmsg sendmsg(MSG_INTERRUPT)
	s_mov_b32 m0, ttmp2
.LBB2_306:                              ; =>This Inner Loop Header: Depth=1
	s_sethalt 5
	s_branch .LBB2_306
.LBB2_307:
	s_trap 2
	s_sendmsg_rtn_b32 s0, sendmsg(MSG_RTN_GET_DOORBELL)
	s_mov_b32 ttmp2, m0
	s_waitcnt lgkmcnt(0)
	s_and_b32 s0, s0, 0x3ff
	s_delay_alu instid0(SALU_CYCLE_1) | instskip(NEXT) | instid1(SALU_CYCLE_1)
	s_bitset1_b32 s0, 10
	s_mov_b32 m0, s0
	s_sendmsg sendmsg(MSG_INTERRUPT)
	s_mov_b32 m0, ttmp2
.LBB2_308:                              ; =>This Inner Loop Header: Depth=1
	s_sethalt 5
	s_branch .LBB2_308
.Lfunc_end2:
	.size	_ZN12_GLOBAL__N_17runRingIm10FuncMinMaxImE7ProtoLLLi0ELi2ELi0EEEviiP15ncclDevWorkColl, .Lfunc_end2-_ZN12_GLOBAL__N_17runRingIm10FuncMinMaxImE7ProtoLLLi0ELi2ELi0EEEviiP15ncclDevWorkColl
                                        ; -- End function
	.section	.AMDGPU.csdata,"",@progbits
; Function info:
; codeLenInByte = 9332
; NumSgprs: 34
; NumVgprs: 167
; ScratchSize: 0
; MemoryBound: 0
	.text
	.p2align	2                               ; -- Begin function _Z50ncclDevFunc_ReduceScatter_RING_LL_MinMax_u64_0_0_2v
	.type	_Z50ncclDevFunc_ReduceScatter_RING_LL_MinMax_u64_0_0_2v,@function
_Z50ncclDevFunc_ReduceScatter_RING_LL_MinMax_u64_0_0_2v: ; @_Z50ncclDevFunc_ReduceScatter_RING_LL_MinMax_u64_0_0_2v
; %bb.0:
	s_waitcnt vmcnt(0) expcnt(0) lgkmcnt(0)
	s_mov_b32 s0, s33
	s_mov_b32 s33, s32
	s_or_saveexec_b32 s1, -1
	scratch_store_b32 off, v40, s33         ; 4-byte Folded Spill
	s_mov_b32 exec_lo, s1
	v_writelane_b32 v40, s0, 4
	s_add_i32 s32, s32, 16
	v_writelane_b32 v40, s34, 0
	v_writelane_b32 v40, s35, 1
	;; [unrolled: 1-line block ×4, first 2 shown]
	s_cbranch_execnz .LBB3_7
; %bb.1:
	ds_load_b32 v0, v0
	v_and_b32_e32 v167, 0x3ff, v31
	s_mov_b32 s0, exec_lo
	s_waitcnt lgkmcnt(0)
	s_delay_alu instid0(VALU_DEP_1)
	v_cmpx_lt_i32_e64 v167, v0
	s_cbranch_execz .LBB3_9
; %bb.2:
	s_load_b32 s1, s[8:9], 0x0
	v_mov_b32_e32 v1, 0
	s_waitcnt lgkmcnt(0)
	s_cmp_lt_u32 s12, s1
	s_cselect_b32 s1, 12, 18
	s_delay_alu instid0(SALU_CYCLE_1)
	s_add_u32 s2, s8, s1
	s_addc_u32 s3, s9, 0
	s_mov_b32 s1, 0
	global_load_u16 v1, v1, s[2:3]
	s_cbranch_execnz .LBB3_24
; %bb.3:
	ds_load_b32 v2, v0
	v_mov_b32_e32 v3, v167
                                        ; implicit-def: $vgpr4
	s_waitcnt vmcnt(0) lgkmcnt(0)
	v_mul_lo_u32 v2, v2, v1
	s_branch .LBB3_5
	.p2align	6
.LBB3_4:                                ;   in Loop: Header=BB3_5 Depth=1
	s_or_b32 exec_lo, exec_lo, s2
	v_add_nc_u32_e32 v3, v3, v1
	v_add_nc_u32_e32 v4, v4, v2
	s_delay_alu instid0(VALU_DEP_2) | instskip(SKIP_1) | instid1(SALU_CYCLE_1)
	v_cmp_ge_i32_e32 vcc_lo, v3, v0
	s_or_b32 s1, vcc_lo, s1
	s_and_not1_b32 exec_lo, exec_lo, s1
	s_cbranch_execz .LBB3_9
.LBB3_5:                                ; =>This Inner Loop Header: Depth=1
	ds_load_b32 v5, v4
	s_mov_b32 s2, exec_lo
	s_waitcnt lgkmcnt(0)
	v_and_b32_e32 v5, 0x1000000, v5
	s_delay_alu instid0(VALU_DEP_1)
	v_cmpx_ne_u32_e32 0, v5
	s_cbranch_execz .LBB3_4
; %bb.6:                                ;   in Loop: Header=BB3_5 Depth=1
	ds_load_b64 v[5:6], v4 offset:104
	s_waitcnt lgkmcnt(0)
	flat_load_b64 v[5:6], v[5:6]
	s_waitcnt vmcnt(0) lgkmcnt(0)
	ds_store_b64 v4, v[5:6] offset:104
	s_branch .LBB3_4
.LBB3_7:
	s_trap 2
	s_sendmsg_rtn_b32 s0, sendmsg(MSG_RTN_GET_DOORBELL)
	s_mov_b32 ttmp2, m0
	s_waitcnt lgkmcnt(0)
	s_and_b32 s0, s0, 0x3ff
	s_delay_alu instid0(SALU_CYCLE_1) | instskip(NEXT) | instid1(SALU_CYCLE_1)
	s_bitset1_b32 s0, 10
	s_mov_b32 m0, s0
	s_sendmsg sendmsg(MSG_INTERRUPT)
	s_mov_b32 m0, ttmp2
.LBB3_8:                                ; =>This Inner Loop Header: Depth=1
	s_sethalt 5
	s_branch .LBB3_8
.LBB3_9:
	s_or_b32 exec_lo, exec_lo, s0
	s_waitcnt lgkmcnt(0)
	s_waitcnt_vscnt null, 0x0
	s_barrier
	buffer_gl0_inv
	s_cbranch_execnz .LBB3_22
; %bb.10:
	ds_load_b32 v0, v0
	s_waitcnt lgkmcnt(0)
	v_cmp_gt_i32_e32 vcc_lo, 1, v0
	s_cbranch_vccnz .LBB3_21
; %bb.11:
	s_mov_b32 s34, 0
	s_mov_b64 s[28:29], src_shared_base
.LBB3_12:                               ; =>This Inner Loop Header: Depth=1
	s_cbranch_execnz .LBB3_26
; %bb.13:                               ;   in Loop: Header=BB3_12 Depth=1
	ds_load_b32 v0, v0
	s_cmp_eq_u32 s34, 0
	s_cbranch_scc1 .LBB3_17
; %bb.14:                               ;   in Loop: Header=BB3_12 Depth=1
	s_cbranch_execnz .LBB3_30
; %bb.15:                               ;   in Loop: Header=BB3_12 Depth=1
	s_waitcnt lgkmcnt(0)
	ds_load_b32 v1, v0
	s_waitcnt lgkmcnt(0)
	v_xor_b32_e32 v1, v1, v0
	s_delay_alu instid0(VALU_DEP_1) | instskip(NEXT) | instid1(VALU_DEP_1)
	v_and_b32_e32 v1, 0xff0000, v1
	v_cmp_eq_u32_e32 vcc_lo, 0, v1
	s_cbranch_vccnz .LBB3_17
; %bb.16:                               ;   in Loop: Header=BB3_12 Depth=1
	s_waitcnt_vscnt null, 0x0
	s_barrier
	buffer_gl0_inv
	ds_load_b32 v0, v0
.LBB3_17:                               ;   in Loop: Header=BB3_12 Depth=1
	s_waitcnt lgkmcnt(0)
	v_lshrrev_b32_e32 v0, 11, v0
	s_mov_b32 s35, exec_lo
	s_delay_alu instid0(VALU_DEP_1) | instskip(NEXT) | instid1(VALU_DEP_1)
	v_and_b32_e32 v1, 0x1fe0, v0
	v_cmpx_lt_u32_e64 v167, v1
	s_cbranch_execz .LBB3_19
; %bb.18:                               ;   in Loop: Header=BB3_12 Depth=1
	v_dual_mov_b32 v0, v167 :: v_dual_mov_b32 v3, s29
	s_getpc_b64 s[0:1]
	s_add_u32 s0, s0, _ZN12_GLOBAL__N_17runRingIm10FuncMinMaxImE7ProtoLLLi0ELi2ELi0EEEviiP15ncclDevWorkColl@rel32@lo+4
	s_addc_u32 s1, s1, _ZN12_GLOBAL__N_17runRingIm10FuncMinMaxImE7ProtoLLLi0ELi2ELi0EEEviiP15ncclDevWorkColl@rel32@hi+12
	s_mov_b64 s[26:27], s[8:9]
	s_mov_b32 s28, s12
	s_swappc_b64 s[30:31], s[0:1]
	s_mov_b32 s12, s28
	s_mov_b64 s[8:9], s[26:27]
.LBB3_19:                               ;   in Loop: Header=BB3_12 Depth=1
	s_or_b32 exec_lo, exec_lo, s35
	s_cbranch_execnz .LBB3_28
; %bb.20:                               ;   in Loop: Header=BB3_12 Depth=1
	ds_load_b32 v0, v0
	s_add_i32 s34, s34, 1
	s_waitcnt lgkmcnt(0)
	v_cmp_lt_i32_e32 vcc_lo, s34, v0
	s_cbranch_vccnz .LBB3_12
.LBB3_21:
	v_readlane_b32 s30, v40, 2
	v_readlane_b32 s31, v40, 3
	;; [unrolled: 1-line block ×5, first 2 shown]
	s_or_saveexec_b32 s1, -1
	scratch_load_b32 v40, off, s33          ; 4-byte Folded Reload
	s_mov_b32 exec_lo, s1
	s_add_i32 s32, s32, -16
	s_mov_b32 s33, s0
	s_waitcnt vmcnt(0)
	s_setpc_b64 s[30:31]
.LBB3_22:
	s_trap 2
	s_sendmsg_rtn_b32 s0, sendmsg(MSG_RTN_GET_DOORBELL)
	s_mov_b32 ttmp2, m0
	s_waitcnt lgkmcnt(0)
	s_and_b32 s0, s0, 0x3ff
	s_delay_alu instid0(SALU_CYCLE_1) | instskip(NEXT) | instid1(SALU_CYCLE_1)
	s_bitset1_b32 s0, 10
	s_mov_b32 m0, s0
	s_sendmsg sendmsg(MSG_INTERRUPT)
	s_mov_b32 m0, ttmp2
.LBB3_23:                               ; =>This Inner Loop Header: Depth=1
	s_sethalt 5
	s_branch .LBB3_23
.LBB3_24:
	s_trap 2
	s_sendmsg_rtn_b32 s0, sendmsg(MSG_RTN_GET_DOORBELL)
	s_mov_b32 ttmp2, m0
	s_waitcnt lgkmcnt(0)
	s_and_b32 s0, s0, 0x3ff
	s_delay_alu instid0(SALU_CYCLE_1) | instskip(NEXT) | instid1(SALU_CYCLE_1)
	s_bitset1_b32 s0, 10
	s_mov_b32 m0, s0
	s_sendmsg sendmsg(MSG_INTERRUPT)
	s_mov_b32 m0, ttmp2
.LBB3_25:                               ; =>This Inner Loop Header: Depth=1
	s_sethalt 5
	s_branch .LBB3_25
.LBB3_26:
	s_trap 2
	s_sendmsg_rtn_b32 s0, sendmsg(MSG_RTN_GET_DOORBELL)
	s_mov_b32 ttmp2, m0
	s_waitcnt lgkmcnt(0)
	s_and_b32 s0, s0, 0x3ff
	s_delay_alu instid0(SALU_CYCLE_1) | instskip(NEXT) | instid1(SALU_CYCLE_1)
	s_bitset1_b32 s0, 10
	s_mov_b32 m0, s0
	s_sendmsg sendmsg(MSG_INTERRUPT)
	s_mov_b32 m0, ttmp2
.LBB3_27:                               ; =>This Inner Loop Header: Depth=1
	s_sethalt 5
	s_branch .LBB3_27
.LBB3_28:
	s_trap 2
	s_sendmsg_rtn_b32 s0, sendmsg(MSG_RTN_GET_DOORBELL)
	s_mov_b32 ttmp2, m0
	s_waitcnt lgkmcnt(0)
	s_and_b32 s0, s0, 0x3ff
	s_delay_alu instid0(SALU_CYCLE_1) | instskip(NEXT) | instid1(SALU_CYCLE_1)
	s_bitset1_b32 s0, 10
	s_mov_b32 m0, s0
	s_sendmsg sendmsg(MSG_INTERRUPT)
	s_mov_b32 m0, ttmp2
.LBB3_29:                               ; =>This Inner Loop Header: Depth=1
	s_sethalt 5
	s_branch .LBB3_29
.LBB3_30:
	s_trap 2
	s_sendmsg_rtn_b32 s0, sendmsg(MSG_RTN_GET_DOORBELL)
	s_mov_b32 ttmp2, m0
	s_waitcnt lgkmcnt(0)
	s_and_b32 s0, s0, 0x3ff
	s_delay_alu instid0(SALU_CYCLE_1) | instskip(NEXT) | instid1(SALU_CYCLE_1)
	s_bitset1_b32 s0, 10
	s_mov_b32 m0, s0
	s_sendmsg sendmsg(MSG_INTERRUPT)
	s_mov_b32 m0, ttmp2
.LBB3_31:                               ; =>This Inner Loop Header: Depth=1
	s_sethalt 5
	s_branch .LBB3_31
.Lfunc_end3:
	.size	_Z50ncclDevFunc_ReduceScatter_RING_LL_MinMax_u64_0_0_2v, .Lfunc_end3-_Z50ncclDevFunc_ReduceScatter_RING_LL_MinMax_u64_0_0_2v
                                        ; -- End function
	.section	.AMDGPU.csdata,"",@progbits
; Function info:
; codeLenInByte = 944
; NumSgprs: 38
; NumVgprs: 168
; ScratchSize: 16
; MemoryBound: 0
	.text
	.p2align	2                               ; -- Begin function _ZN12_GLOBAL__N_17runRingIm10FuncMinMaxImE7ProtoLLLi0ELi4ELi0EEEviiP15ncclDevWorkColl
	.type	_ZN12_GLOBAL__N_17runRingIm10FuncMinMaxImE7ProtoLLLi0ELi4ELi0EEEviiP15ncclDevWorkColl,@function
_ZN12_GLOBAL__N_17runRingIm10FuncMinMaxImE7ProtoLLLi0ELi4ELi0EEEviiP15ncclDevWorkColl: ; @_ZN12_GLOBAL__N_17runRingIm10FuncMinMaxImE7ProtoLLLi0ELi4ELi0EEEviiP15ncclDevWorkColl
; %bb.0:
	s_waitcnt vmcnt(0) expcnt(0) lgkmcnt(0)
	s_cbranch_execnz .LBB4_15
; %bb.1:
	v_mov_b32_e32 v4, v0
	s_clause 0x2
	flat_load_b32 v0, v[2:3]
	flat_load_b128 v[5:8], v[2:3] offset:72
	flat_load_b64 v[19:20], v[2:3] offset:88
	s_mov_b32 s0, exec_lo
                                        ; implicit-def: $vgpr17_vgpr18
                                        ; implicit-def: $vgpr25_vgpr26
	s_waitcnt vmcnt(2) lgkmcnt(2)
	v_and_b32_e32 v11, 0xff, v0
	v_bfe_u32 v10, v0, 8, 8
	s_delay_alu instid0(VALU_DEP_2) | instskip(SKIP_3) | instid1(VALU_DEP_1)
	v_not_b32_e32 v0, v11
	ds_load_b32 v9, v0
	ds_load_b64 v[23:24], v0
	v_add_nc_u32_e32 v12, v10, v0
	v_ashrrev_i32_e32 v13, 31, v12
	s_waitcnt vmcnt(1) lgkmcnt(3)
	v_mul_lo_u32 v14, v8, v12
	v_mad_u64_u32 v[64:65], null, v7, v12, 0
	s_delay_alu instid0(VALU_DEP_3) | instskip(NEXT) | instid1(VALU_DEP_1)
	v_mul_lo_u32 v12, v7, v13
	v_add3_u32 v69, v65, v12, v14
	s_waitcnt lgkmcnt(1)
	v_readfirstlane_b32 s10, v9
	v_cmpx_ne_u32_e64 v11, v9
	s_xor_b32 s0, exec_lo, s0
	s_cbranch_execz .LBB4_7
; %bb.2:
	s_mov_b32 s1, exec_lo
                                        ; implicit-def: $vgpr17_vgpr18
                                        ; implicit-def: $vgpr25_vgpr26
	v_cmpx_ne_u32_e64 v10, v9
	s_xor_b32 s1, exec_lo, s1
	s_cbranch_execz .LBB4_4
; %bb.3:
	flat_load_b64 v[10:11], v[2:3] offset:96
	v_add_nc_u32_e32 v0, v9, v0
	s_delay_alu instid0(VALU_DEP_1) | instskip(SKIP_2) | instid1(VALU_DEP_3)
	v_ashrrev_i32_e32 v9, 31, v0
	v_mul_lo_u32 v12, v8, v0
	v_mad_u64_u32 v[25:26], null, v7, v0, v[5:6]
	v_mul_lo_u32 v9, v7, v9
	s_delay_alu instid0(VALU_DEP_1)
	v_add3_u32 v26, v12, v26, v9
	s_waitcnt vmcnt(0) lgkmcnt(0)
	v_lshrrev_b64 v[17:18], 20, v[10:11]
.LBB4_4:
	s_and_not1_saveexec_b32 s1, s1
	s_cbranch_execz .LBB4_6
; %bb.5:
	flat_load_b32 v0, v[2:3] offset:100
	v_add_co_u32 v25, vcc_lo, v64, v5
	v_add_co_ci_u32_e32 v26, vcc_lo, v69, v6, vcc_lo
	s_waitcnt vmcnt(1)
	v_dual_mov_b32 v7, v19 :: v_dual_mov_b32 v8, v20
	s_waitcnt vmcnt(0) lgkmcnt(0)
	v_lshrrev_b32_e32 v17, 9, v0
.LBB4_6:
	s_or_b32 exec_lo, exec_lo, s1
.LBB4_7:
	s_and_not1_saveexec_b32 s0, s0
	s_cbranch_execz .LBB4_9
; %bb.8:
	flat_load_b64 v[7:8], v[2:3] offset:96
	v_mov_b32_e32 v25, 0
	v_mov_b32_e32 v26, 0
	s_waitcnt vmcnt(0) lgkmcnt(0)
	v_lshlrev_b64 v[17:18], 1, v[7:8]
	v_dual_mov_b32 v8, v6 :: v_dual_mov_b32 v7, v5
.LBB4_9:
	s_or_b32 exec_lo, exec_lo, s0
	s_load_b32 s0, s[8:9], 0x0
	v_mov_b32_e32 v0, 0
	flat_load_b64 v[27:28], v[2:3] offset:104
	s_mov_b32 s2, 0
	s_waitcnt lgkmcnt(0)
	s_cmp_lt_u32 s12, s0
	s_cselect_b32 s0, 12, 18
	s_delay_alu instid0(SALU_CYCLE_1)
	s_add_u32 s0, s8, s0
	s_addc_u32 s1, s9, 0
	s_clause 0x2
	flat_load_b128 v[9:12], v[2:3] offset:16
	flat_load_u16 v14, v[2:3] offset:8
	flat_load_b32 v13, v[2:3] offset:4
	global_load_u16 v0, v0, s[0:1]
	s_cbranch_execnz .LBB4_17
; %bb.10:
	s_waitcnt vmcnt(0)
	ds_load_b32 v2, v0
	s_waitcnt lgkmcnt(1)
	v_lshrrev_b64 v[13:14], 31, v[13:14]
	s_delay_alu instid0(VALU_DEP_1)
	v_and_b32_e32 v14, 3, v13
	v_and_b32_e32 v13, 31, v4
	s_waitcnt lgkmcnt(0)
	v_cmp_gt_i32_e32 vcc_lo, 0, v2
	v_readfirstlane_b32 s1, v2
	s_cbranch_vccnz .LBB4_19
; %bb.11:
	v_cmp_eq_u32_e32 vcc_lo, 0, v13
	s_cbranch_execnz .LBB4_23
; %bb.12:
	ds_load_b64 v[15:16], v0
	v_dual_mov_b32 v3, 0 :: v_dual_and_b32 v18, 0xffff, v14
	s_mov_b32 s2, 1
	s_delay_alu instid0(VALU_DEP_1) | instskip(SKIP_1) | instid1(VALU_DEP_1)
	v_lshlrev_b64 v[2:3], 3, v[2:3]
	s_waitcnt lgkmcnt(0)
	v_add_co_u32 v2, s0, v15, v2
	s_delay_alu instid0(VALU_DEP_1)
	v_add_co_ci_u32_e64 v3, s0, v16, v3, s0
	flat_load_b64 v[2:3], v[2:3]
	s_waitcnt vmcnt(0) lgkmcnt(0)
	v_mad_u64_u32 v[15:16], null, 0xa8, v18, v[2:3]
	s_clause 0x1
	flat_load_b64 v[32:33], v[15:16] offset:504
	flat_load_b64 v[34:35], v[15:16] offset:608
	v_add_co_u32 v2, s0, 0x1f8, v15
	s_delay_alu instid0(VALU_DEP_1) | instskip(NEXT) | instid1(VALU_DEP_1)
	v_add_co_ci_u32_e64 v3, s0, 0, v16, s0
	v_dual_cndmask_b32 v29, 0, v2 :: v_dual_cndmask_b32 v30, 0, v3
	s_cbranch_execz .LBB4_20
.LBB4_13:
	s_trap 2
	s_sendmsg_rtn_b32 s0, sendmsg(MSG_RTN_GET_DOORBELL)
	s_mov_b32 ttmp2, m0
	s_waitcnt lgkmcnt(0)
	s_and_b32 s0, s0, 0x3ff
	s_delay_alu instid0(SALU_CYCLE_1) | instskip(NEXT) | instid1(SALU_CYCLE_1)
	s_bitset1_b32 s0, 10
	s_mov_b32 m0, s0
	s_sendmsg sendmsg(MSG_INTERRUPT)
	s_mov_b32 m0, ttmp2
.LBB4_14:                               ; =>This Inner Loop Header: Depth=1
	s_sethalt 5
	s_branch .LBB4_14
.LBB4_15:
	s_trap 2
	s_sendmsg_rtn_b32 s0, sendmsg(MSG_RTN_GET_DOORBELL)
	s_mov_b32 ttmp2, m0
	s_waitcnt lgkmcnt(0)
	s_and_b32 s0, s0, 0x3ff
	s_delay_alu instid0(SALU_CYCLE_1) | instskip(NEXT) | instid1(SALU_CYCLE_1)
	s_bitset1_b32 s0, 10
	s_mov_b32 m0, s0
	s_sendmsg sendmsg(MSG_INTERRUPT)
	s_mov_b32 m0, ttmp2
.LBB4_16:                               ; =>This Inner Loop Header: Depth=1
	s_sethalt 5
	s_branch .LBB4_16
.LBB4_17:
	s_trap 2
	s_sendmsg_rtn_b32 s0, sendmsg(MSG_RTN_GET_DOORBELL)
	s_mov_b32 ttmp2, m0
	s_waitcnt lgkmcnt(0)
	s_and_b32 s0, s0, 0x3ff
	s_delay_alu instid0(SALU_CYCLE_1) | instskip(NEXT) | instid1(SALU_CYCLE_1)
	s_bitset1_b32 s0, 10
	s_mov_b32 m0, s0
	s_sendmsg sendmsg(MSG_INTERRUPT)
	s_mov_b32 m0, ttmp2
.LBB4_18:                               ; =>This Inner Loop Header: Depth=1
	s_sethalt 5
	s_branch .LBB4_18
.LBB4_19:
	v_mov_b32_e32 v29, 0
	v_mov_b32_e32 v30, 0
                                        ; implicit-def: $vgpr34_vgpr35
                                        ; implicit-def: $vgpr32_vgpr33
	s_cbranch_execnz .LBB4_13
.LBB4_20:
	ds_load_b32 v2, v0
	v_mov_b32_e32 v38, 0
	v_mov_b32_e32 v39, 0
	s_waitcnt lgkmcnt(0)
	v_cmp_gt_i32_e32 vcc_lo, 0, v2
	s_cbranch_vccnz .LBB4_25
; %bb.21:
	s_cbranch_execnz .LBB4_227
; %bb.22:
	ds_load_b64 v[15:16], v0
	v_mov_b32_e32 v3, 0
	s_delay_alu instid0(VALU_DEP_1) | instskip(SKIP_1) | instid1(VALU_DEP_1)
	v_lshlrev_b64 v[2:3], 3, v[2:3]
	s_waitcnt lgkmcnt(0)
	v_add_co_u32 v2, vcc_lo, v15, v2
	s_delay_alu instid0(VALU_DEP_2)
	v_add_co_ci_u32_e32 v3, vcc_lo, v16, v3, vcc_lo
	v_and_b32_e32 v16, 0xffff, v14
	v_cmp_eq_u32_e32 vcc_lo, 0, v13
	flat_load_b64 v[2:3], v[2:3]
	s_waitcnt vmcnt(0) lgkmcnt(0)
	v_mad_u64_u32 v[14:15], null, 0xa8, v16, v[2:3]
	s_clause 0x1
	flat_load_b64 v[48:49], v[14:15]
	flat_load_b64 v[21:22], v[14:15] offset:104
	v_dual_cndmask_b32 v37, 0, v15 :: v_dual_cndmask_b32 v36, 0, v14
	s_branch .LBB4_26
.LBB4_23:
	s_trap 2
	s_sendmsg_rtn_b32 s0, sendmsg(MSG_RTN_GET_DOORBELL)
	s_mov_b32 ttmp2, m0
	s_waitcnt lgkmcnt(0)
	s_and_b32 s0, s0, 0x3ff
	s_delay_alu instid0(SALU_CYCLE_1) | instskip(NEXT) | instid1(SALU_CYCLE_1)
	s_bitset1_b32 s0, 10
	s_mov_b32 m0, s0
	s_sendmsg sendmsg(MSG_INTERRUPT)
	s_mov_b32 m0, ttmp2
.LBB4_24:                               ; =>This Inner Loop Header: Depth=1
	s_sethalt 5
	s_branch .LBB4_24
.LBB4_25:
	s_delay_alu instid0(VALU_DEP_2)
	v_dual_mov_b32 v36, v38 :: v_dual_mov_b32 v37, v39
                                        ; implicit-def: $vgpr21_vgpr22
                                        ; implicit-def: $vgpr48_vgpr49
.LBB4_26:
	v_subrev_nc_u32_e32 v2, 32, v1
	v_cmp_gt_u32_e64 s0, s2, v13
                                        ; implicit-def: $vgpr50_vgpr51
	s_delay_alu instid0(VALU_DEP_2) | instskip(NEXT) | instid1(VALU_DEP_2)
	v_cmp_le_i32_e32 vcc_lo, v2, v4
	s_and_b32 s12, vcc_lo, s0
	s_delay_alu instid0(SALU_CYCLE_1)
	s_and_saveexec_b32 s0, s12
; %bb.27:
	s_clause 0x1
	flat_load_b64 v[38:39], v[29:30] offset:56
	flat_load_b64 v[50:51], v[29:30] offset:104
; %bb.28:
	s_or_b32 exec_lo, exec_lo, s0
	v_mov_b32_e32 v2, 0
	v_mov_b32_e32 v3, 0
	v_cmp_gt_i32_e64 s0, s2, v4
                                        ; implicit-def: $vgpr54_vgpr55
	s_delay_alu instid0(VALU_DEP_2) | instskip(SKIP_1) | instid1(VALU_DEP_3)
	v_dual_mov_b32 v14, v3 :: v_dual_mov_b32 v13, v2
	v_dual_mov_b32 v53, v3 :: v_dual_mov_b32 v52, v2
	s_and_saveexec_b32 s2, s0
	s_cbranch_execz .LBB4_30
; %bb.29:
	flat_load_b64 v[52:53], v[36:37] offset:56
	s_waitcnt vmcnt(0) lgkmcnt(0)
	flat_load_b64 v[54:55], v[52:53] glc dlc
	s_waitcnt vmcnt(0)
	flat_load_b128 v[13:16], v[36:37] offset:96
.LBB4_30:
	s_or_b32 exec_lo, exec_lo, s2
	v_and_b32_e32 v0, 0xffff, v0
	s_mov_b32 s13, exec_lo
	v_cmpx_ne_u64_e32 0, v[7:8]
	s_cbranch_execz .LBB4_215
; %bb.31:
	v_add_co_u32 v2, vcc_lo, v19, v5
	s_ashr_i32 s2, s1, 31
	v_add_co_ci_u32_e32 v3, vcc_lo, v20, v6, vcc_lo
	s_lshr_b32 s2, s2, 29
	s_ashr_i32 s11, s10, 31
	v_add_co_u32 v68, vcc_lo, v2, v64
	s_add_i32 s1, s1, s2
	s_lshl_b64 s[2:3], s[10:11], 2
	v_add_co_ci_u32_e32 v69, vcc_lo, v3, v69, vcc_lo
	v_add_co_u32 v3, vcc_lo, v23, s2
	v_add_co_ci_u32_e32 v5, vcc_lo, s3, v24, vcc_lo
	v_ashrrev_i32_e32 v2, 31, v1
	s_delay_alu instid0(VALU_DEP_3) | instskip(NEXT) | instid1(VALU_DEP_3)
	v_add_co_u32 v70, vcc_lo, v3, -4
	v_add_co_ci_u32_e32 v71, vcc_lo, -1, v5, vcc_lo
	v_ashrrev_i32_e32 v5, 31, v4
	s_delay_alu instid0(VALU_DEP_4) | instskip(SKIP_2) | instid1(VALU_DEP_4)
	v_lshrrev_b32_e32 v6, 27, v2
	v_dual_mov_b32 v65, 0 :: v_dual_and_b32 v66, 0x3ffffe, v17
	v_and_b32_e32 v64, 7, v9
	v_lshlrev_b64 v[80:81], 3, v[4:5]
	s_delay_alu instid0(VALU_DEP_4)
	v_dual_mov_b32 v84, 0 :: v_dual_add_nc_u32 v3, v1, v6
	v_lshlrev_b64 v[18:19], 3, v[25:26]
	v_mov_b32_e32 v85, 0
	v_dual_mov_b32 v67, v65 :: v_dual_and_b32 v6, 31, v31
	v_add_co_u32 v128, vcc_lo, v11, v80
	v_add_co_ci_u32_e32 v129, vcc_lo, v12, v81, vcc_lo
	v_add_co_u32 v130, vcc_lo, v9, v80
	v_add_co_ci_u32_e32 v131, vcc_lo, v10, v81, vcc_lo
	v_cmp_eq_u64_e32 vcc_lo, 0, v[64:65]
	v_ashrrev_i32_e32 v118, 5, v3
	v_cmp_eq_u32_e64 s5, 0, v6
	s_ashr_i32 s14, s1, 7
	v_cmp_ne_u64_e64 s1, 0, v[52:53]
	s_waitcnt vmcnt(0) lgkmcnt(0)
	v_cmp_ne_u64_e64 s2, 0, v[13:14]
	v_cndmask_b32_e64 v132, 0, 1, vcc_lo
	v_add_co_u32 v3, vcc_lo, v18, v80
	v_add_co_ci_u32_e32 v6, vcc_lo, v19, v81, vcc_lo
	v_dual_mov_b32 v144, 1 :: v_dual_lshlrev_b32 v19, 3, v17
	v_lshlrev_b64 v[17:18], 4, v[4:5]
	s_delay_alu instid0(VALU_DEP_4) | instskip(NEXT) | instid1(VALU_DEP_4)
	v_add_co_u32 v9, vcc_lo, v11, v3
	v_add_co_ci_u32_e32 v10, vcc_lo, v12, v6, vcc_lo
	v_cmp_ne_u64_e64 s6, 0, v[38:39]
	s_delay_alu instid0(VALU_DEP_4)
	v_add_co_u32 v134, vcc_lo, v48, v17
	v_and_b32_e32 v133, 0x1fffff0, v19
	v_lshlrev_b64 v[5:6], 3, v[68:69]
	v_lshlrev_b64 v[82:83], 3, v[1:2]
	;; [unrolled: 1-line block ×3, first 2 shown]
	v_mov_b32_e32 v2, v84
	v_cmp_ne_u32_e64 s3, 32, v1
	v_cmp_ne_u32_e64 s4, v0, v1
	v_ashrrev_i32_e32 v119, 31, v118
	v_add_co_ci_u32_e32 v135, vcc_lo, v49, v18, vcc_lo
	v_mov_b32_e32 v145, 0
	v_mov_b32_e32 v3, v85
	s_cmp_gt_i32 s10, 2
	s_mov_b32 s11, 0
	s_cselect_b32 s15, -1, 0
.LBB4_32:                               ; =>This Loop Header: Depth=1
                                        ;     Child Loop BB4_39 Depth 2
                                        ;     Child Loop BB4_59 Depth 2
	;; [unrolled: 1-line block ×5, first 2 shown]
                                        ;       Child Loop BB4_88 Depth 3
                                        ;       Child Loop BB4_108 Depth 3
	;; [unrolled: 1-line block ×3, first 2 shown]
                                        ;         Child Loop BB4_130 Depth 4
                                        ;       Child Loop BB4_148 Depth 3
                                        ;       Child Loop BB4_165 Depth 3
                                        ;     Child Loop BB4_170 Depth 2
                                        ;       Child Loop BB4_174 Depth 3
                                        ;     Child Loop BB4_198 Depth 2
	s_waitcnt vmcnt(0) lgkmcnt(0)
	flat_load_b32 v19, v[70:71]
	v_sub_co_u32 v17, vcc_lo, v7, v84
	v_sub_co_ci_u32_e32 v18, vcc_lo, v8, v85, vcc_lo
	s_delay_alu instid0(VALU_DEP_1)
	v_cmp_lt_u64_e32 vcc_lo, v[66:67], v[17:18]
	v_cndmask_b32_e32 v146, v17, v66, vcc_lo
	s_and_saveexec_b32 s7, s1
	s_cbranch_execz .LBB4_50
; %bb.33:                               ;   in Loop: Header=BB4_32 Depth=1
	v_add_co_u32 v17, vcc_lo, v15, 1
	v_add_co_ci_u32_e32 v18, vcc_lo, 0, v16, vcc_lo
	v_add_co_u32 v96, vcc_lo, v54, 8
	v_add_co_ci_u32_e32 v97, vcc_lo, 0, v55, vcc_lo
	s_mov_b32 s8, exec_lo
	s_delay_alu instid0(VALU_DEP_1)
	v_cmpx_lt_u64_e64 v[96:97], v[17:18]
	s_cbranch_execz .LBB4_47
; %bb.34:                               ;   in Loop: Header=BB4_32 Depth=1
	s_sleep 1
	flat_load_b64 v[54:55], v[52:53] glc
	v_cmp_eq_u32_e32 vcc_lo, 0, v145
	s_and_saveexec_b32 s9, vcc_lo
	s_cbranch_execz .LBB4_46
; %bb.35:                               ;   in Loop: Header=BB4_32 Depth=1
	v_cndmask_b32_e64 v16, 0, 1, vcc_lo
	s_mov_b32 s16, 0
                                        ; implicit-def: $sgpr17
	s_branch .LBB4_39
.LBB4_36:                               ;   in Loop: Header=BB4_39 Depth=2
	s_or_b32 exec_lo, exec_lo, s20
	s_delay_alu instid0(SALU_CYCLE_1)
	s_or_not1_b32 s20, s21, exec_lo
.LBB4_37:                               ;   in Loop: Header=BB4_39 Depth=2
	s_or_b32 exec_lo, exec_lo, s19
	s_xor_b32 s19, s20, -1
	s_and_not1_b32 s17, s17, exec_lo
	s_and_b32 s19, s19, exec_lo
	s_delay_alu instid0(SALU_CYCLE_1)
	s_or_b32 s17, s17, s19
.LBB4_38:                               ;   in Loop: Header=BB4_39 Depth=2
	s_or_b32 exec_lo, exec_lo, s18
	s_delay_alu instid0(SALU_CYCLE_1) | instskip(NEXT) | instid1(SALU_CYCLE_1)
	s_and_b32 s18, exec_lo, s17
	s_or_b32 s16, s18, s16
	s_delay_alu instid0(SALU_CYCLE_1)
	s_and_not1_b32 exec_lo, exec_lo, s16
	s_cbranch_execz .LBB4_45
.LBB4_39:                               ;   Parent Loop BB4_32 Depth=1
                                        ; =>  This Inner Loop Header: Depth=2
	s_waitcnt vmcnt(0) lgkmcnt(0)
	v_add_co_u32 v96, vcc_lo, v54, 8
	v_add_co_ci_u32_e32 v97, vcc_lo, 0, v55, vcc_lo
	v_mov_b32_e32 v145, 0
	s_or_b32 s17, s17, exec_lo
	s_mov_b32 s18, exec_lo
	s_delay_alu instid0(VALU_DEP_2)
	v_cmpx_lt_u64_e64 v[96:97], v[17:18]
	s_cbranch_execz .LBB4_38
; %bb.40:                               ;   in Loop: Header=BB4_39 Depth=2
	s_sleep 1
	flat_load_b64 v[54:55], v[52:53] glc
	v_dual_mov_b32 v145, 0 :: v_dual_add_nc_u32 v16, 1, v16
	s_mov_b32 s20, -1
	s_mov_b32 s19, exec_lo
	s_delay_alu instid0(VALU_DEP_1)
	v_cmpx_eq_u32_e32 0x2710, v16
	s_cbranch_execz .LBB4_37
; %bb.41:                               ;   in Loop: Header=BB4_39 Depth=2
	s_cbranch_execnz .LBB4_233
; %bb.42:                               ;   in Loop: Header=BB4_39 Depth=2
	ds_load_b64 v[96:97], v0
	v_dual_mov_b32 v16, 0 :: v_dual_mov_b32 v145, 0
	s_mov_b32 s21, -1
	s_mov_b32 s20, exec_lo
	s_waitcnt vmcnt(0) lgkmcnt(0)
	s_waitcnt_vscnt null, 0x0
	flat_load_b32 v20, v[96:97] glc
	s_waitcnt vmcnt(0) lgkmcnt(0)
	buffer_gl1_inv
	buffer_gl0_inv
	v_cmpx_ne_u32_e32 0, v20
	s_cbranch_execz .LBB4_36
; %bb.43:                               ;   in Loop: Header=BB4_39 Depth=2
	ds_store_b32 v0, v20
	s_cbranch_execnz .LBB4_258
; %bb.44:                               ;   in Loop: Header=BB4_39 Depth=2
	v_mov_b32_e32 v145, 1
	s_xor_b32 s21, exec_lo, -1
	s_branch .LBB4_36
.LBB4_45:                               ;   in Loop: Header=BB4_32 Depth=1
	s_or_b32 exec_lo, exec_lo, s16
.LBB4_46:                               ;   in Loop: Header=BB4_32 Depth=1
	s_delay_alu instid0(SALU_CYCLE_1)
	s_or_b32 exec_lo, exec_lo, s9
.LBB4_47:                               ;   in Loop: Header=BB4_32 Depth=1
	s_delay_alu instid0(SALU_CYCLE_1)
	s_or_b32 exec_lo, exec_lo, s8
	s_and_saveexec_b32 s8, s2
	s_cbranch_execz .LBB4_49
; %bb.48:                               ;   in Loop: Header=BB4_32 Depth=1
	v_and_b32_e32 v64, 0x7ffffff8, v15
	v_and_b32_e32 v20, 7, v15
	s_delay_alu instid0(VALU_DEP_2) | instskip(NEXT) | instid1(VALU_DEP_2)
	v_cmp_eq_u64_e32 vcc_lo, 0x7ffffff8, v[64:65]
	v_mad_u64_u32 v[96:97], null, v20, 24, v[13:14]
	v_cndmask_b32_e64 v16, v146, s14, vcc_lo
	s_delay_alu instid0(VALU_DEP_1) | instskip(NEXT) | instid1(VALU_DEP_1)
	v_lshlrev_b32_e32 v15, 4, v16
	v_ashrrev_i32_e32 v16, 31, v15
	flat_store_b64 v[96:97], v[15:16] offset:8 dlc
	s_waitcnt_vscnt null, 0x0
.LBB4_49:                               ;   in Loop: Header=BB4_32 Depth=1
	s_or_b32 exec_lo, exec_lo, s8
	v_dual_mov_b32 v15, v17 :: v_dual_mov_b32 v16, v18
.LBB4_50:                               ;   in Loop: Header=BB4_32 Depth=1
	s_or_b32 exec_lo, exec_lo, s7
	s_and_saveexec_b32 s7, s3
	s_cbranch_execz .LBB4_72
; %bb.51:                               ;   in Loop: Header=BB4_32 Depth=1
	s_and_saveexec_b32 s8, s4
	s_delay_alu instid0(SALU_CYCLE_1)
	s_xor_b32 s8, exec_lo, s8
	s_cbranch_execz .LBB4_69
; %bb.52:                               ;   in Loop: Header=BB4_32 Depth=1
	s_and_saveexec_b32 s9, s5
	s_cbranch_execz .LBB4_68
; %bb.53:                               ;   in Loop: Header=BB4_32 Depth=1
	s_mov_b32 s17, exec_lo
	s_mov_b32 s16, exec_lo
	v_mbcnt_lo_u32_b32 v17, s17, 0
	s_waitcnt vmcnt(0) lgkmcnt(0)
	s_waitcnt_vscnt null, 0x0
	buffer_gl1_inv
	buffer_gl0_inv
	v_cmpx_eq_u32_e32 0, v17
	s_cbranch_execz .LBB4_55
; %bb.54:                               ;   in Loop: Header=BB4_32 Depth=1
	s_bcnt1_i32_b32 s17, s17
	s_delay_alu instid0(SALU_CYCLE_1)
	v_mov_b32_e32 v64, s17
	ds_add_u64 v0, v[64:65]
	s_cbranch_execnz .LBB4_252
.LBB4_55:                               ;   in Loop: Header=BB4_32 Depth=1
	s_or_b32 exec_lo, exec_lo, s16
	s_cbranch_execnz .LBB4_239
; %bb.56:                               ;   in Loop: Header=BB4_32 Depth=1
	ds_load_b64 v[17:18], v0
	v_add_co_u32 v2, vcc_lo, v2, v118
	v_add_co_ci_u32_e32 v3, vcc_lo, v3, v119, vcc_lo
	s_mov_b32 s16, exec_lo
	s_waitcnt lgkmcnt(0)
	s_delay_alu instid0(VALU_DEP_1)
	v_cmpx_lt_u64_e64 v[17:18], v[2:3]
	s_cbranch_execz .LBB4_67
; %bb.57:                               ;   in Loop: Header=BB4_32 Depth=1
	s_mov_b32 s17, 0
	s_mov_b32 s20, 0
                                        ; implicit-def: $sgpr18
                                        ; implicit-def: $sgpr19
	s_branch .LBB4_59
.LBB4_58:                               ;   in Loop: Header=BB4_59 Depth=2
	s_or_b32 exec_lo, exec_lo, s23
	s_delay_alu instid0(SALU_CYCLE_1) | instskip(NEXT) | instid1(SALU_CYCLE_1)
	s_and_b32 s21, exec_lo, s22
	s_or_b32 s17, s21, s17
	s_and_not1_b32 s18, s18, exec_lo
	s_and_b32 s21, s19, exec_lo
	s_delay_alu instid0(SALU_CYCLE_1)
	s_or_b32 s18, s18, s21
	s_and_not1_b32 exec_lo, exec_lo, s17
	s_cbranch_execz .LBB4_65
.LBB4_59:                               ;   Parent Loop BB4_32 Depth=1
                                        ; =>  This Inner Loop Header: Depth=2
	s_add_i32 s20, s20, 1
                                        ; implicit-def: $sgpr22
	s_delay_alu instid0(SALU_CYCLE_1) | instskip(SKIP_1) | instid1(SALU_CYCLE_1)
	s_cmpk_lg_i32 s20, 0x2710
	s_cselect_b32 s21, -1, 0
	s_and_b32 vcc_lo, exec_lo, s21
	s_cbranch_vccz .LBB4_63
.LBB4_60:                               ;   in Loop: Header=BB4_59 Depth=2
	s_and_not1_b32 s19, s19, exec_lo
	s_and_b32 s23, s22, exec_lo
	s_mov_b32 s22, -1
	s_or_b32 s19, s19, s23
	s_and_saveexec_b32 s23, s21
	s_cbranch_execz .LBB4_58
; %bb.61:                               ;   in Loop: Header=BB4_59 Depth=2
	s_sleep 1
	s_cbranch_execnz .LBB4_266
; %bb.62:                               ;   in Loop: Header=BB4_59 Depth=2
	ds_load_b64 v[17:18], v0
	s_and_not1_b32 s19, s19, exec_lo
	s_waitcnt lgkmcnt(0)
	v_cmp_ge_u64_e32 vcc_lo, v[17:18], v[2:3]
	s_or_not1_b32 s22, vcc_lo, exec_lo
	s_branch .LBB4_58
.LBB4_63:                               ;   in Loop: Header=BB4_59 Depth=2
	s_cbranch_execnz .LBB4_274
; %bb.64:                               ;   in Loop: Header=BB4_59 Depth=2
	ds_load_b64 v[17:18], v0
	s_and_not1_b32 s21, s21, exec_lo
	s_mov_b32 s20, 0
	s_mov_b32 s22, -1
	s_waitcnt lgkmcnt(0)
	flat_load_b32 v17, v[17:18] glc
	s_waitcnt vmcnt(0) lgkmcnt(0)
	buffer_gl1_inv
	buffer_gl0_inv
	v_cmp_eq_u32_e32 vcc_lo, 0, v17
	s_and_b32 s23, vcc_lo, exec_lo
	s_delay_alu instid0(SALU_CYCLE_1)
	s_or_b32 s21, s21, s23
	s_branch .LBB4_60
.LBB4_65:                               ;   in Loop: Header=BB4_32 Depth=1
	s_or_b32 exec_lo, exec_lo, s17
	s_and_saveexec_b32 s17, s18
	s_delay_alu instid0(SALU_CYCLE_1)
	s_xor_b32 s17, exec_lo, s17
	s_cbranch_execz .LBB4_67
; %bb.66:                               ;   in Loop: Header=BB4_32 Depth=1
	ds_store_b32 v0, v144
	s_cbranch_execnz .LBB4_299
.LBB4_67:                               ;   in Loop: Header=BB4_32 Depth=1
	s_or_b32 exec_lo, exec_lo, s16
	;;#ASMSTART
	s_wakeup
	;;#ASMEND
.LBB4_68:                               ;   in Loop: Header=BB4_32 Depth=1
	s_or_b32 exec_lo, exec_lo, s9
.LBB4_69:                               ;   in Loop: Header=BB4_32 Depth=1
	s_and_not1_saveexec_b32 s8, s8
	s_cbranch_execz .LBB4_71
; %bb.70:                               ;   in Loop: Header=BB4_32 Depth=1
	s_waitcnt vmcnt(0) lgkmcnt(0)
	s_waitcnt_vscnt null, 0x0
	buffer_gl1_inv
	buffer_gl0_inv
	s_barrier
.LBB4_71:                               ;   in Loop: Header=BB4_32 Depth=1
	s_or_b32 exec_lo, exec_lo, s8
.LBB4_72:                               ;   in Loop: Header=BB4_32 Depth=1
	s_delay_alu instid0(SALU_CYCLE_1) | instskip(SKIP_2) | instid1(VALU_DEP_2)
	s_or_b32 exec_lo, exec_lo, s7
	v_sub_nc_u32_e32 v147, v146, v4
	v_mov_b32_e32 v96, v4
	v_cmp_lt_i32_e64 s7, 0, v147
	s_delay_alu instid0(VALU_DEP_1)
	s_and_saveexec_b32 s9, s7
	s_cbranch_execz .LBB4_76
; %bb.73:                               ;   in Loop: Header=BB4_32 Depth=1
	v_dual_mov_b32 v100, v21 :: v_dual_and_b32 v17, 7, v21
	s_waitcnt vmcnt(0) lgkmcnt(0)
	v_ashrrev_i32_e32 v20, 31, v19
	v_mad_u64_u32 v[97:98], null, v5, v19, v[9:10]
	s_delay_alu instid0(VALU_DEP_3) | instskip(SKIP_1) | instid1(VALU_DEP_4)
	v_mul_lo_u32 v17, v17, s14
	v_mul_lo_u32 v96, v6, v19
	;; [unrolled: 1-line block ×3, first 2 shown]
	v_add_co_u32 v101, vcc_lo, 0, 0
	v_mov_b32_e32 v64, v147
	s_mov_b32 s16, 0
	v_ashrrev_i32_e32 v18, 31, v17
	s_delay_alu instid0(VALU_DEP_4) | instskip(SKIP_1) | instid1(VALU_DEP_3)
	v_add3_u32 v98, v96, v98, v99
	v_mov_b32_e32 v96, v4
	v_lshlrev_b64 v[19:20], 4, v[17:18]
	v_add_co_ci_u32_e32 v18, vcc_lo, 1, v100, vcc_lo
	s_delay_alu instid0(VALU_DEP_2) | instskip(NEXT) | instid1(VALU_DEP_3)
	v_add_co_u32 v99, vcc_lo, v134, v19
	v_add_co_ci_u32_e32 v100, vcc_lo, v135, v20, vcc_lo
	.p2align	6
.LBB4_74:                               ;   Parent Loop BB4_32 Depth=1
                                        ; =>  This Inner Loop Header: Depth=2
	flat_load_b64 v[102:103], v[97:98] glc
	v_mov_b32_e32 v20, v18
	v_sub_nc_u32_e32 v64, v64, v1
	v_add_co_u32 v97, vcc_lo, v97, v82
	v_add_co_ci_u32_e32 v98, vcc_lo, v98, v83, vcc_lo
	s_delay_alu instid0(VALU_DEP_3)
	v_cmp_gt_i32_e32 vcc_lo, 1, v64
	v_add_nc_u32_e32 v96, v96, v1
	s_or_b32 s16, vcc_lo, s16
	s_waitcnt vmcnt(0) lgkmcnt(0)
	v_mov_b32_e32 v19, v103
	v_or_b32_e32 v17, v102, v101
	s_delay_alu instid0(VALU_DEP_2) | instskip(SKIP_2) | instid1(VALU_DEP_1)
	v_or_b32_e32 v19, v19, v101
	global_store_b128 v[99:100], v[17:20], off
	v_add_co_u32 v99, s8, v99, v86
	v_add_co_ci_u32_e64 v100, s8, v100, v87, s8
	s_and_not1_b32 exec_lo, exec_lo, s16
	s_cbranch_execnz .LBB4_74
; %bb.75:                               ;   in Loop: Header=BB4_32 Depth=1
	s_or_b32 exec_lo, exec_lo, s16
.LBB4_76:                               ;   in Loop: Header=BB4_32 Depth=1
	s_delay_alu instid0(SALU_CYCLE_1) | instskip(SKIP_2) | instid1(VALU_DEP_2)
	s_or_b32 exec_lo, exec_lo, s9
	v_and_b32_e32 v64, 0x7ffffff8, v21
	v_cmp_gt_i32_e64 s8, s14, v96
	v_cmp_eq_u64_e32 vcc_lo, 0x7ffffff8, v[64:65]
	s_delay_alu instid0(VALU_DEP_2) | instskip(NEXT) | instid1(SALU_CYCLE_1)
	s_and_b32 s8, vcc_lo, s8
	s_and_saveexec_b32 s9, s8
	s_cbranch_execz .LBB4_79
; %bb.77:                               ;   in Loop: Header=BB4_32 Depth=1
	v_dual_mov_b32 v64, v21 :: v_dual_and_b32 v17, 7, v21
	v_ashrrev_i32_e32 v97, 31, v96
	s_mov_b32 s16, 0
	s_delay_alu instid0(VALU_DEP_2) | instskip(SKIP_1) | instid1(VALU_DEP_2)
	v_mul_lo_u32 v17, v17, s14
	s_waitcnt vmcnt(0) lgkmcnt(0)
	v_lshlrev_b64 v[19:20], 4, v[96:97]
	s_delay_alu instid0(VALU_DEP_2) | instskip(NEXT) | instid1(VALU_DEP_1)
	v_ashrrev_i32_e32 v18, 31, v17
	v_lshlrev_b64 v[17:18], 4, v[17:18]
	s_delay_alu instid0(VALU_DEP_1) | instskip(NEXT) | instid1(VALU_DEP_2)
	v_add_co_u32 v19, vcc_lo, v19, v17
	v_add_co_ci_u32_e32 v20, vcc_lo, v20, v18, vcc_lo
	v_add_co_u32 v17, vcc_lo, 0, 0
	v_add_co_ci_u32_e32 v18, vcc_lo, 1, v64, vcc_lo
	s_delay_alu instid0(VALU_DEP_4) | instskip(NEXT) | instid1(VALU_DEP_4)
	v_add_co_u32 v97, vcc_lo, v48, v19
	v_add_co_ci_u32_e32 v98, vcc_lo, v49, v20, vcc_lo
.LBB4_78:                               ;   Parent Loop BB4_32 Depth=1
                                        ; =>  This Inner Loop Header: Depth=2
	s_delay_alu instid0(VALU_DEP_4) | instskip(NEXT) | instid1(VALU_DEP_4)
	v_dual_mov_b32 v19, v17 :: v_dual_add_nc_u32 v96, v96, v1
	v_mov_b32_e32 v20, v18
	s_delay_alu instid0(VALU_DEP_2) | instskip(SKIP_2) | instid1(VALU_DEP_1)
	v_cmp_le_i32_e32 vcc_lo, s14, v96
	global_store_b128 v[97:98], v[17:20], off
	v_add_co_u32 v97, s8, v97, v86
	v_add_co_ci_u32_e64 v98, s8, v98, v87, s8
	s_or_b32 s16, vcc_lo, s16
	s_delay_alu instid0(SALU_CYCLE_1)
	s_and_not1_b32 exec_lo, exec_lo, s16
	s_cbranch_execnz .LBB4_78
.LBB4_79:                               ;   in Loop: Header=BB4_32 Depth=1
	s_or_b32 exec_lo, exec_lo, s9
	v_add_co_u32 v96, vcc_lo, v84, v25
	v_add_co_ci_u32_e32 v97, vcc_lo, v85, v26, vcc_lo
	v_add_co_u32 v98, vcc_lo, v21, 1
	v_add_co_ci_u32_e32 v99, vcc_lo, 0, v22, vcc_lo
	s_and_not1_b32 vcc_lo, exec_lo, s15
	s_cbranch_vccnz .LBB4_167
; %bb.80:                               ;   in Loop: Header=BB4_32 Depth=1
	v_lshlrev_b64 v[17:18], 3, v[96:97]
	v_add_nc_u16 v150, v21, 1
	s_mov_b32 s16, 2
	s_delay_alu instid0(VALU_DEP_2) | instskip(NEXT) | instid1(VALU_DEP_3)
	v_add_co_u32 v148, vcc_lo, v128, v17
	v_add_co_ci_u32_e32 v149, vcc_lo, v129, v18, vcc_lo
.LBB4_81:                               ;   Parent Loop BB4_32 Depth=1
                                        ; =>  This Loop Header: Depth=2
                                        ;       Child Loop BB4_88 Depth 3
                                        ;       Child Loop BB4_108 Depth 3
                                        ;       Child Loop BB4_126 Depth 3
                                        ;         Child Loop BB4_130 Depth 4
                                        ;       Child Loop BB4_148 Depth 3
                                        ;       Child Loop BB4_165 Depth 3
	s_sub_i32 s8, s10, s16
	s_delay_alu instid0(SALU_CYCLE_1) | instskip(NEXT) | instid1(SALU_CYCLE_1)
	s_ashr_i32 s9, s8, 31
	s_lshl_b64 s[8:9], s[8:9], 2
	s_delay_alu instid0(SALU_CYCLE_1)
	v_add_co_u32 v17, vcc_lo, v23, s8
	v_add_co_ci_u32_e32 v18, vcc_lo, s9, v24, vcc_lo
	s_waitcnt vmcnt(0) lgkmcnt(0)
	flat_load_b32 v19, v[17:18]
	s_and_saveexec_b32 s8, s1
	s_cbranch_execz .LBB4_99
; %bb.82:                               ;   in Loop: Header=BB4_81 Depth=2
	v_add_co_u32 v17, vcc_lo, v15, 1
	v_add_co_ci_u32_e32 v18, vcc_lo, 0, v16, vcc_lo
	v_add_co_u32 v20, vcc_lo, v54, 8
	v_add_co_ci_u32_e32 v21, vcc_lo, 0, v55, vcc_lo
	s_mov_b32 s9, exec_lo
	s_delay_alu instid0(VALU_DEP_1)
	v_cmpx_lt_u64_e64 v[20:21], v[17:18]
	s_cbranch_execz .LBB4_96
; %bb.83:                               ;   in Loop: Header=BB4_81 Depth=2
	s_sleep 1
	flat_load_b64 v[54:55], v[52:53] glc
	v_cmp_eq_u32_e32 vcc_lo, 0, v145
	s_and_saveexec_b32 s17, vcc_lo
	s_cbranch_execz .LBB4_95
; %bb.84:                               ;   in Loop: Header=BB4_81 Depth=2
	v_cndmask_b32_e64 v16, 0, 1, vcc_lo
	s_mov_b32 s18, 0
                                        ; implicit-def: $sgpr19
	s_branch .LBB4_88
.LBB4_85:                               ;   in Loop: Header=BB4_88 Depth=3
	s_or_b32 exec_lo, exec_lo, s22
	s_delay_alu instid0(SALU_CYCLE_1)
	s_or_not1_b32 s22, s23, exec_lo
.LBB4_86:                               ;   in Loop: Header=BB4_88 Depth=3
	s_or_b32 exec_lo, exec_lo, s21
	s_xor_b32 s21, s22, -1
	s_and_not1_b32 s19, s19, exec_lo
	s_and_b32 s21, s21, exec_lo
	s_delay_alu instid0(SALU_CYCLE_1)
	s_or_b32 s19, s19, s21
.LBB4_87:                               ;   in Loop: Header=BB4_88 Depth=3
	s_or_b32 exec_lo, exec_lo, s20
	s_delay_alu instid0(SALU_CYCLE_1) | instskip(NEXT) | instid1(SALU_CYCLE_1)
	s_and_b32 s20, exec_lo, s19
	s_or_b32 s18, s20, s18
	s_delay_alu instid0(SALU_CYCLE_1)
	s_and_not1_b32 exec_lo, exec_lo, s18
	s_cbranch_execz .LBB4_94
.LBB4_88:                               ;   Parent Loop BB4_32 Depth=1
                                        ;     Parent Loop BB4_81 Depth=2
                                        ; =>    This Inner Loop Header: Depth=3
	s_waitcnt vmcnt(0) lgkmcnt(0)
	v_add_co_u32 v20, vcc_lo, v54, 8
	v_add_co_ci_u32_e32 v21, vcc_lo, 0, v55, vcc_lo
	v_mov_b32_e32 v145, 0
	s_or_b32 s19, s19, exec_lo
	s_mov_b32 s20, exec_lo
	s_delay_alu instid0(VALU_DEP_2)
	v_cmpx_lt_u64_e64 v[20:21], v[17:18]
	s_cbranch_execz .LBB4_87
; %bb.89:                               ;   in Loop: Header=BB4_88 Depth=3
	s_sleep 1
	flat_load_b64 v[54:55], v[52:53] glc
	v_dual_mov_b32 v145, 0 :: v_dual_add_nc_u32 v16, 1, v16
	s_mov_b32 s22, -1
	s_mov_b32 s21, exec_lo
	s_delay_alu instid0(VALU_DEP_1)
	v_cmpx_eq_u32_e32 0x2710, v16
	s_cbranch_execz .LBB4_86
; %bb.90:                               ;   in Loop: Header=BB4_88 Depth=3
	s_cbranch_execnz .LBB4_235
; %bb.91:                               ;   in Loop: Header=BB4_88 Depth=3
	ds_load_b64 v[20:21], v0
	v_dual_mov_b32 v16, 0 :: v_dual_mov_b32 v145, 0
	s_mov_b32 s23, -1
	s_mov_b32 s22, exec_lo
	s_waitcnt vmcnt(0) lgkmcnt(0)
	s_waitcnt_vscnt null, 0x0
	flat_load_b32 v20, v[20:21] glc
	s_waitcnt vmcnt(0) lgkmcnt(0)
	buffer_gl1_inv
	buffer_gl0_inv
	v_cmpx_ne_u32_e32 0, v20
	s_cbranch_execz .LBB4_85
; %bb.92:                               ;   in Loop: Header=BB4_88 Depth=3
	ds_store_b32 v0, v20
	s_cbranch_execnz .LBB4_262
; %bb.93:                               ;   in Loop: Header=BB4_88 Depth=3
	v_mov_b32_e32 v145, 1
	s_xor_b32 s23, exec_lo, -1
	s_branch .LBB4_85
.LBB4_94:                               ;   in Loop: Header=BB4_81 Depth=2
	s_or_b32 exec_lo, exec_lo, s18
.LBB4_95:                               ;   in Loop: Header=BB4_81 Depth=2
	s_delay_alu instid0(SALU_CYCLE_1)
	s_or_b32 exec_lo, exec_lo, s17
.LBB4_96:                               ;   in Loop: Header=BB4_81 Depth=2
	s_delay_alu instid0(SALU_CYCLE_1)
	s_or_b32 exec_lo, exec_lo, s9
	s_and_saveexec_b32 s9, s2
	s_cbranch_execz .LBB4_98
; %bb.97:                               ;   in Loop: Header=BB4_81 Depth=2
	v_and_b32_e32 v64, 0x7ffffff8, v15
	v_and_b32_e32 v22, 7, v15
	s_delay_alu instid0(VALU_DEP_2) | instskip(NEXT) | instid1(VALU_DEP_2)
	v_cmp_eq_u64_e32 vcc_lo, 0x7ffffff8, v[64:65]
	v_mad_u64_u32 v[20:21], null, v22, 24, v[13:14]
	v_cndmask_b32_e64 v16, v146, s14, vcc_lo
	s_delay_alu instid0(VALU_DEP_1) | instskip(NEXT) | instid1(VALU_DEP_1)
	v_lshlrev_b32_e32 v15, 4, v16
	v_ashrrev_i32_e32 v16, 31, v15
	flat_store_b64 v[20:21], v[15:16] offset:8 dlc
	s_waitcnt_vscnt null, 0x0
.LBB4_98:                               ;   in Loop: Header=BB4_81 Depth=2
	s_or_b32 exec_lo, exec_lo, s9
	v_dual_mov_b32 v15, v17 :: v_dual_mov_b32 v16, v18
.LBB4_99:                               ;   in Loop: Header=BB4_81 Depth=2
	s_or_b32 exec_lo, exec_lo, s8
	s_and_saveexec_b32 s8, s3
	s_cbranch_execz .LBB4_121
; %bb.100:                              ;   in Loop: Header=BB4_81 Depth=2
	s_and_saveexec_b32 s9, s4
	s_delay_alu instid0(SALU_CYCLE_1)
	s_xor_b32 s9, exec_lo, s9
	s_cbranch_execz .LBB4_118
; %bb.101:                              ;   in Loop: Header=BB4_81 Depth=2
	s_and_saveexec_b32 s17, s5
	s_cbranch_execz .LBB4_117
; %bb.102:                              ;   in Loop: Header=BB4_81 Depth=2
	s_mov_b32 s19, exec_lo
	s_mov_b32 s18, exec_lo
	v_mbcnt_lo_u32_b32 v17, s19, 0
	s_waitcnt vmcnt(0) lgkmcnt(0)
	s_waitcnt_vscnt null, 0x0
	buffer_gl1_inv
	buffer_gl0_inv
	v_cmpx_eq_u32_e32 0, v17
	s_cbranch_execz .LBB4_104
; %bb.103:                              ;   in Loop: Header=BB4_81 Depth=2
	s_bcnt1_i32_b32 s19, s19
	s_delay_alu instid0(SALU_CYCLE_1)
	v_mov_b32_e32 v64, s19
	ds_add_u64 v0, v[64:65]
	s_cbranch_execnz .LBB4_260
.LBB4_104:                              ;   in Loop: Header=BB4_81 Depth=2
	s_or_b32 exec_lo, exec_lo, s18
	s_cbranch_execnz .LBB4_254
; %bb.105:                              ;   in Loop: Header=BB4_81 Depth=2
	ds_load_b64 v[17:18], v0
	v_add_co_u32 v2, vcc_lo, v2, v118
	v_add_co_ci_u32_e32 v3, vcc_lo, v3, v119, vcc_lo
	s_mov_b32 s18, exec_lo
	s_waitcnt lgkmcnt(0)
	s_delay_alu instid0(VALU_DEP_1)
	v_cmpx_lt_u64_e64 v[17:18], v[2:3]
	s_cbranch_execz .LBB4_116
; %bb.106:                              ;   in Loop: Header=BB4_81 Depth=2
	s_mov_b32 s19, 0
	s_mov_b32 s22, 0
                                        ; implicit-def: $sgpr20
                                        ; implicit-def: $sgpr21
	s_branch .LBB4_108
.LBB4_107:                              ;   in Loop: Header=BB4_108 Depth=3
	s_or_b32 exec_lo, exec_lo, s25
	s_delay_alu instid0(SALU_CYCLE_1) | instskip(NEXT) | instid1(SALU_CYCLE_1)
	s_and_b32 s23, exec_lo, s24
	s_or_b32 s19, s23, s19
	s_and_not1_b32 s20, s20, exec_lo
	s_and_b32 s23, s21, exec_lo
	s_delay_alu instid0(SALU_CYCLE_1)
	s_or_b32 s20, s20, s23
	s_and_not1_b32 exec_lo, exec_lo, s19
	s_cbranch_execz .LBB4_114
.LBB4_108:                              ;   Parent Loop BB4_32 Depth=1
                                        ;     Parent Loop BB4_81 Depth=2
                                        ; =>    This Inner Loop Header: Depth=3
	s_add_i32 s22, s22, 1
                                        ; implicit-def: $sgpr24
	s_delay_alu instid0(SALU_CYCLE_1) | instskip(SKIP_1) | instid1(SALU_CYCLE_1)
	s_cmpk_lg_i32 s22, 0x2710
	s_cselect_b32 s23, -1, 0
	s_and_b32 vcc_lo, exec_lo, s23
	s_cbranch_vccz .LBB4_112
.LBB4_109:                              ;   in Loop: Header=BB4_108 Depth=3
	s_and_not1_b32 s21, s21, exec_lo
	s_and_b32 s25, s24, exec_lo
	s_mov_b32 s24, -1
	s_or_b32 s21, s21, s25
	s_and_saveexec_b32 s25, s23
	s_cbranch_execz .LBB4_107
; %bb.110:                              ;   in Loop: Header=BB4_108 Depth=3
	s_sleep 1
	s_cbranch_execnz .LBB4_278
; %bb.111:                              ;   in Loop: Header=BB4_108 Depth=3
	ds_load_b64 v[17:18], v0
	s_and_not1_b32 s21, s21, exec_lo
	s_waitcnt lgkmcnt(0)
	v_cmp_ge_u64_e32 vcc_lo, v[17:18], v[2:3]
	s_or_not1_b32 s24, vcc_lo, exec_lo
	s_branch .LBB4_107
.LBB4_112:                              ;   in Loop: Header=BB4_108 Depth=3
	s_cbranch_execnz .LBB4_282
; %bb.113:                              ;   in Loop: Header=BB4_108 Depth=3
	ds_load_b64 v[17:18], v0
	s_and_not1_b32 s23, s23, exec_lo
	s_mov_b32 s22, 0
	s_mov_b32 s24, -1
	s_waitcnt lgkmcnt(0)
	flat_load_b32 v17, v[17:18] glc
	s_waitcnt vmcnt(0) lgkmcnt(0)
	buffer_gl1_inv
	buffer_gl0_inv
	v_cmp_eq_u32_e32 vcc_lo, 0, v17
	s_and_b32 s25, vcc_lo, exec_lo
	s_delay_alu instid0(SALU_CYCLE_1)
	s_or_b32 s23, s23, s25
	s_branch .LBB4_109
.LBB4_114:                              ;   in Loop: Header=BB4_81 Depth=2
	s_or_b32 exec_lo, exec_lo, s19
	s_and_saveexec_b32 s19, s20
	s_delay_alu instid0(SALU_CYCLE_1)
	s_xor_b32 s19, exec_lo, s19
	s_cbranch_execz .LBB4_116
; %bb.115:                              ;   in Loop: Header=BB4_81 Depth=2
	ds_store_b32 v0, v144
	s_cbranch_execnz .LBB4_303
.LBB4_116:                              ;   in Loop: Header=BB4_81 Depth=2
	s_or_b32 exec_lo, exec_lo, s18
	;;#ASMSTART
	s_wakeup
	;;#ASMEND
.LBB4_117:                              ;   in Loop: Header=BB4_81 Depth=2
	s_or_b32 exec_lo, exec_lo, s17
.LBB4_118:                              ;   in Loop: Header=BB4_81 Depth=2
	s_and_not1_saveexec_b32 s9, s9
	s_cbranch_execz .LBB4_120
; %bb.119:                              ;   in Loop: Header=BB4_81 Depth=2
	s_waitcnt vmcnt(0) lgkmcnt(0)
	s_waitcnt_vscnt null, 0x0
	buffer_gl1_inv
	buffer_gl0_inv
	s_barrier
.LBB4_120:                              ;   in Loop: Header=BB4_81 Depth=2
	s_or_b32 exec_lo, exec_lo, s9
.LBB4_121:                              ;   in Loop: Header=BB4_81 Depth=2
	s_delay_alu instid0(SALU_CYCLE_1)
	s_or_b32 exec_lo, exec_lo, s8
	v_mov_b32_e32 v100, v4
	s_and_saveexec_b32 s17, s7
	s_cbranch_execz .LBB4_139
; %bb.122:                              ;   in Loop: Header=BB4_81 Depth=2
	s_waitcnt vmcnt(0) lgkmcnt(0)
	v_ashrrev_i32_e32 v20, 31, v19
	v_mul_lo_u32 v22, v69, v19
	v_mad_u64_u32 v[17:18], null, v68, v19, 0
	v_dual_mov_b32 v100, v98 :: v_dual_and_b32 v19, 7, v34
	s_delay_alu instid0(VALU_DEP_4) | instskip(SKIP_1) | instid1(VALU_DEP_3)
	v_mul_lo_u32 v20, v68, v20
	v_dual_mov_b32 v164, v147 :: v_dual_and_b32 v21, 7, v98
	v_mul_lo_u32 v19, v19, s14
	v_add_nc_u32_e32 v64, 1, v34
	s_mov_b32 s18, 0
	s_delay_alu instid0(VALU_DEP_3) | instskip(SKIP_1) | instid1(VALU_DEP_4)
	v_mul_lo_u32 v21, v21, s14
	v_add3_u32 v18, v18, v20, v22
	v_ashrrev_i32_e32 v20, 31, v19
	s_delay_alu instid0(VALU_DEP_2) | instskip(NEXT) | instid1(VALU_DEP_4)
	v_lshlrev_b64 v[17:18], 3, v[17:18]
	v_ashrrev_i32_e32 v22, 31, v21
	s_delay_alu instid0(VALU_DEP_3) | instskip(NEXT) | instid1(VALU_DEP_2)
	v_lshlrev_b64 v[19:20], 4, v[19:20]
	v_lshlrev_b64 v[21:22], 4, v[21:22]
	s_delay_alu instid0(VALU_DEP_4) | instskip(SKIP_1) | instid1(VALU_DEP_4)
	v_add_co_u32 v102, vcc_lo, v148, v17
	v_add_co_ci_u32_e32 v103, vcc_lo, v149, v18, vcc_lo
	v_add_co_u32 v151, vcc_lo, v32, v19
	v_add_co_ci_u32_e32 v160, vcc_lo, v33, v20, vcc_lo
	;; [unrolled: 2-line block ×4, first 2 shown]
	v_mov_b32_e32 v100, v4
	s_branch .LBB4_126
.LBB4_123:                              ;   in Loop: Header=BB4_126 Depth=3
	s_or_b32 exec_lo, exec_lo, s20
	s_xor_b32 s8, s21, -1
	s_delay_alu instid0(SALU_CYCLE_1) | instskip(NEXT) | instid1(SALU_CYCLE_1)
	s_and_saveexec_b32 s20, s8
	s_xor_b32 s8, exec_lo, s20
	s_delay_alu instid0(SALU_CYCLE_1) | instskip(NEXT) | instid1(SALU_CYCLE_1)
	s_and_not1_saveexec_b32 s8, s8
	s_or_b32 exec_lo, exec_lo, s8
.LBB4_124:                              ;   in Loop: Header=BB4_126 Depth=3
	s_delay_alu instid0(SALU_CYCLE_1)
	s_or_b32 exec_lo, exec_lo, s9
.LBB4_125:                              ;   in Loop: Header=BB4_126 Depth=3
	s_delay_alu instid0(SALU_CYCLE_1)
	s_or_b32 exec_lo, exec_lo, s19
	v_xor_b32_e32 v117, v21, v28
	v_xor_b32_e32 v116, v19, v27
	s_waitcnt vmcnt(0) lgkmcnt(0)
	v_xor_b32_e32 v166, v113, v28
	v_xor_b32_e32 v165, v112, v27
	v_sub_nc_u32_e32 v164, v164, v1
	v_add_co_u32 v102, s8, v102, v82
	s_delay_alu instid0(VALU_DEP_1) | instskip(NEXT) | instid1(VALU_DEP_4)
	v_add_co_ci_u32_e64 v103, s8, v103, v83, s8
	v_cmp_lt_u64_e32 vcc_lo, v[116:117], v[165:166]
	v_add_nc_u32_e32 v100, v100, v1
	v_dual_cndmask_b32 v20, v113, v21 :: v_dual_cndmask_b32 v17, v112, v19
	v_add_co_u32 v21, vcc_lo, v161, v114
	v_add_co_ci_u32_e32 v22, vcc_lo, v162, v115, vcc_lo
	v_cmp_gt_i32_e32 vcc_lo, 1, v164
	s_delay_alu instid0(VALU_DEP_4)
	v_or_b32_e32 v17, v17, v163
	v_or_b32_e32 v19, v20, v163
	v_mov_b32_e32 v20, v18
	s_or_b32 s18, vcc_lo, s18
	global_store_b128 v[21:22], v[17:20], off
	s_and_not1_b32 exec_lo, exec_lo, s18
	s_cbranch_execz .LBB4_138
.LBB4_126:                              ;   Parent Loop BB4_32 Depth=1
                                        ;     Parent Loop BB4_81 Depth=2
                                        ; =>    This Loop Header: Depth=3
                                        ;         Child Loop BB4_130 Depth 4
	flat_load_b64 v[112:113], v[102:103] glc
	v_ashrrev_i32_e32 v101, 31, v100
	s_delay_alu instid0(VALU_DEP_1) | instskip(NEXT) | instid1(VALU_DEP_1)
	v_lshlrev_b64 v[114:115], 4, v[100:101]
	v_add_co_u32 v116, vcc_lo, v151, v114
	s_delay_alu instid0(VALU_DEP_2)
	v_add_co_ci_u32_e32 v117, vcc_lo, v160, v115, vcc_lo
	v_cmp_eq_u32_e32 vcc_lo, 0, v145
	;;#ASMSTART
	global_load_b128 v[19:22], v[116:117], off glc slc dlc
s_waitcnt vmcnt(0)

	;;#ASMEND
	s_and_saveexec_b32 s19, vcc_lo
	s_cbranch_execz .LBB4_125
; %bb.127:                              ;   in Loop: Header=BB4_126 Depth=3
	v_cmp_ne_u32_e64 s8, v64, v20
	v_cmp_ne_u32_e64 s9, v64, v22
	v_mov_b32_e32 v145, 0
	s_delay_alu instid0(VALU_DEP_2) | instskip(NEXT) | instid1(SALU_CYCLE_1)
	s_or_b32 s8, s8, s9
	s_and_saveexec_b32 s9, s8
	s_cbranch_execz .LBB4_124
; %bb.128:                              ;   in Loop: Header=BB4_126 Depth=3
	v_cndmask_b32_e64 v17, 0, 1, vcc_lo
	s_mov_b32 s20, 0
                                        ; implicit-def: $sgpr21
                                        ; implicit-def: $sgpr22
	s_branch .LBB4_130
.LBB4_129:                              ;   in Loop: Header=BB4_130 Depth=4
	s_or_b32 exec_lo, exec_lo, s23
	s_delay_alu instid0(SALU_CYCLE_1) | instskip(NEXT) | instid1(SALU_CYCLE_1)
	s_and_b32 s8, exec_lo, s8
	s_or_b32 s20, s8, s20
	s_and_not1_b32 s8, s21, exec_lo
	s_and_b32 s21, s22, exec_lo
	s_delay_alu instid0(SALU_CYCLE_1)
	s_or_b32 s21, s8, s21
	s_and_not1_b32 exec_lo, exec_lo, s20
	s_cbranch_execz .LBB4_123
.LBB4_130:                              ;   Parent Loop BB4_32 Depth=1
                                        ;     Parent Loop BB4_81 Depth=2
                                        ;       Parent Loop BB4_126 Depth=3
                                        ; =>      This Inner Loop Header: Depth=4
	s_delay_alu instid0(VALU_DEP_1)
	v_add_nc_u32_e32 v17, 1, v17
	v_mov_b32_e32 v145, 0
	s_mov_b32 s8, -1
	s_mov_b32 s24, -1
	s_mov_b32 s23, exec_lo
	;;#ASMSTART
	global_load_b128 v[19:22], v[116:117], off glc slc dlc
s_waitcnt vmcnt(0)

	;;#ASMEND
	v_cmpx_eq_u32_e32 0x2710, v17
	s_cbranch_execz .LBB4_136
; %bb.131:                              ;   in Loop: Header=BB4_130 Depth=4
	s_cbranch_execnz .LBB4_229
; %bb.132:                              ;   in Loop: Header=BB4_130 Depth=4
	ds_load_b64 v[165:166], v0
	v_mov_b32_e32 v17, 0
	v_mov_b32_e32 v145, 0
	s_mov_b32 s25, -1
	s_mov_b32 s24, exec_lo
	s_waitcnt vmcnt(0) lgkmcnt(0)
	s_waitcnt_vscnt null, 0x0
	flat_load_b32 v101, v[165:166] glc
	s_waitcnt vmcnt(0) lgkmcnt(0)
	buffer_gl1_inv
	buffer_gl0_inv
	v_cmpx_ne_u32_e32 0, v101
	s_cbranch_execz .LBB4_135
; %bb.133:                              ;   in Loop: Header=BB4_130 Depth=4
	ds_store_b32 v0, v101
	s_cbranch_execnz .LBB4_237
; %bb.134:                              ;   in Loop: Header=BB4_130 Depth=4
	v_mov_b32_e32 v145, 1
	s_xor_b32 s25, exec_lo, -1
.LBB4_135:                              ;   in Loop: Header=BB4_130 Depth=4
	s_or_b32 exec_lo, exec_lo, s24
	s_delay_alu instid0(SALU_CYCLE_1)
	s_or_not1_b32 s24, s25, exec_lo
.LBB4_136:                              ;   in Loop: Header=BB4_130 Depth=4
	s_or_b32 exec_lo, exec_lo, s23
	s_delay_alu instid0(SALU_CYCLE_1)
	s_or_b32 s22, s22, exec_lo
	s_and_saveexec_b32 s23, s24
	s_cbranch_execz .LBB4_129
; %bb.137:                              ;   in Loop: Header=BB4_130 Depth=4
	v_cmp_eq_u32_e32 vcc_lo, v64, v20
	v_cmp_eq_u32_e64 s8, v64, v22
	s_and_not1_b32 s22, s22, exec_lo
	s_delay_alu instid0(VALU_DEP_1) | instskip(NEXT) | instid1(SALU_CYCLE_1)
	s_and_b32 s8, vcc_lo, s8
	s_or_not1_b32 s8, s8, exec_lo
	s_branch .LBB4_129
.LBB4_138:                              ;   in Loop: Header=BB4_81 Depth=2
	s_or_b32 exec_lo, exec_lo, s18
.LBB4_139:                              ;   in Loop: Header=BB4_81 Depth=2
	s_delay_alu instid0(SALU_CYCLE_1)
	s_or_b32 exec_lo, exec_lo, s17
	s_and_saveexec_b32 s8, s3
	s_cbranch_execz .LBB4_161
; %bb.140:                              ;   in Loop: Header=BB4_81 Depth=2
	s_and_saveexec_b32 s9, s4
	s_delay_alu instid0(SALU_CYCLE_1)
	s_xor_b32 s9, exec_lo, s9
	s_cbranch_execz .LBB4_158
; %bb.141:                              ;   in Loop: Header=BB4_81 Depth=2
	s_and_saveexec_b32 s17, s5
	s_cbranch_execz .LBB4_157
; %bb.142:                              ;   in Loop: Header=BB4_81 Depth=2
	s_mov_b32 s19, exec_lo
	s_mov_b32 s18, exec_lo
	v_mbcnt_lo_u32_b32 v17, s19, 0
	s_waitcnt vmcnt(0) lgkmcnt(0)
	s_waitcnt_vscnt null, 0x0
	buffer_gl1_inv
	buffer_gl0_inv
	v_cmpx_eq_u32_e32 0, v17
	s_cbranch_execz .LBB4_144
; %bb.143:                              ;   in Loop: Header=BB4_81 Depth=2
	s_bcnt1_i32_b32 s19, s19
	s_delay_alu instid0(SALU_CYCLE_1)
	v_mov_b32_e32 v64, s19
	ds_add_u64 v0, v[64:65]
	s_cbranch_execnz .LBB4_272
.LBB4_144:                              ;   in Loop: Header=BB4_81 Depth=2
	s_or_b32 exec_lo, exec_lo, s18
	s_cbranch_execnz .LBB4_264
; %bb.145:                              ;   in Loop: Header=BB4_81 Depth=2
	ds_load_b64 v[17:18], v0
	v_add_co_u32 v2, vcc_lo, v2, v118
	v_add_co_ci_u32_e32 v3, vcc_lo, v3, v119, vcc_lo
	s_mov_b32 s18, exec_lo
	s_waitcnt lgkmcnt(0)
	s_delay_alu instid0(VALU_DEP_1)
	v_cmpx_lt_u64_e64 v[17:18], v[2:3]
	s_cbranch_execz .LBB4_156
; %bb.146:                              ;   in Loop: Header=BB4_81 Depth=2
	s_mov_b32 s19, 0
	s_mov_b32 s22, 0
                                        ; implicit-def: $sgpr20
                                        ; implicit-def: $sgpr21
	s_branch .LBB4_148
.LBB4_147:                              ;   in Loop: Header=BB4_148 Depth=3
	s_or_b32 exec_lo, exec_lo, s25
	s_delay_alu instid0(SALU_CYCLE_1) | instskip(NEXT) | instid1(SALU_CYCLE_1)
	s_and_b32 s23, exec_lo, s24
	s_or_b32 s19, s23, s19
	s_and_not1_b32 s20, s20, exec_lo
	s_and_b32 s23, s21, exec_lo
	s_delay_alu instid0(SALU_CYCLE_1)
	s_or_b32 s20, s20, s23
	s_and_not1_b32 exec_lo, exec_lo, s19
	s_cbranch_execz .LBB4_154
.LBB4_148:                              ;   Parent Loop BB4_32 Depth=1
                                        ;     Parent Loop BB4_81 Depth=2
                                        ; =>    This Inner Loop Header: Depth=3
	s_add_i32 s22, s22, 1
                                        ; implicit-def: $sgpr24
	s_delay_alu instid0(SALU_CYCLE_1) | instskip(SKIP_1) | instid1(SALU_CYCLE_1)
	s_cmpk_lg_i32 s22, 0x2710
	s_cselect_b32 s23, -1, 0
	s_and_b32 vcc_lo, exec_lo, s23
	s_cbranch_vccz .LBB4_152
.LBB4_149:                              ;   in Loop: Header=BB4_148 Depth=3
	s_and_not1_b32 s21, s21, exec_lo
	s_and_b32 s25, s24, exec_lo
	s_mov_b32 s24, -1
	s_or_b32 s21, s21, s25
	s_and_saveexec_b32 s25, s23
	s_cbranch_execz .LBB4_147
; %bb.150:                              ;   in Loop: Header=BB4_148 Depth=3
	s_sleep 1
	s_cbranch_execnz .LBB4_284
; %bb.151:                              ;   in Loop: Header=BB4_148 Depth=3
	ds_load_b64 v[17:18], v0
	s_and_not1_b32 s21, s21, exec_lo
	s_waitcnt lgkmcnt(0)
	v_cmp_ge_u64_e32 vcc_lo, v[17:18], v[2:3]
	s_or_not1_b32 s24, vcc_lo, exec_lo
	s_branch .LBB4_147
.LBB4_152:                              ;   in Loop: Header=BB4_148 Depth=3
	s_cbranch_execnz .LBB4_286
; %bb.153:                              ;   in Loop: Header=BB4_148 Depth=3
	ds_load_b64 v[17:18], v0
	s_and_not1_b32 s23, s23, exec_lo
	s_mov_b32 s22, 0
	s_mov_b32 s24, -1
	s_waitcnt lgkmcnt(0)
	flat_load_b32 v17, v[17:18] glc
	s_waitcnt vmcnt(0) lgkmcnt(0)
	buffer_gl1_inv
	buffer_gl0_inv
	v_cmp_eq_u32_e32 vcc_lo, 0, v17
	s_and_b32 s25, vcc_lo, exec_lo
	s_delay_alu instid0(SALU_CYCLE_1)
	s_or_b32 s23, s23, s25
	s_branch .LBB4_149
.LBB4_154:                              ;   in Loop: Header=BB4_81 Depth=2
	s_or_b32 exec_lo, exec_lo, s19
	s_and_saveexec_b32 s19, s20
	s_delay_alu instid0(SALU_CYCLE_1)
	s_xor_b32 s19, exec_lo, s19
	s_cbranch_execz .LBB4_156
; %bb.155:                              ;   in Loop: Header=BB4_81 Depth=2
	ds_store_b32 v0, v144
	s_cbranch_execnz .LBB4_305
.LBB4_156:                              ;   in Loop: Header=BB4_81 Depth=2
	s_or_b32 exec_lo, exec_lo, s18
	;;#ASMSTART
	s_wakeup
	;;#ASMEND
.LBB4_157:                              ;   in Loop: Header=BB4_81 Depth=2
	s_or_b32 exec_lo, exec_lo, s17
.LBB4_158:                              ;   in Loop: Header=BB4_81 Depth=2
	s_and_not1_saveexec_b32 s9, s9
	s_cbranch_execz .LBB4_160
; %bb.159:                              ;   in Loop: Header=BB4_81 Depth=2
	s_waitcnt vmcnt(0) lgkmcnt(0)
	s_waitcnt_vscnt null, 0x0
	buffer_gl1_inv
	buffer_gl0_inv
	s_barrier
.LBB4_160:                              ;   in Loop: Header=BB4_81 Depth=2
	s_or_b32 exec_lo, exec_lo, s9
.LBB4_161:                              ;   in Loop: Header=BB4_81 Depth=2
	s_delay_alu instid0(SALU_CYCLE_1)
	s_or_b32 exec_lo, exec_lo, s8
	s_and_saveexec_b32 s8, s6
	s_cbranch_execz .LBB4_163
; %bb.162:                              ;   in Loop: Header=BB4_81 Depth=2
	v_add_co_u32 v50, vcc_lo, v50, 1
	v_add_co_ci_u32_e32 v51, vcc_lo, 0, v51, vcc_lo
	s_waitcnt vmcnt(0) lgkmcnt(0)
	s_waitcnt_vscnt null, 0x0
	flat_store_b64 v[38:39], v[50:51]
.LBB4_163:                              ;   in Loop: Header=BB4_81 Depth=2
	s_or_b32 exec_lo, exec_lo, s8
	v_and_b32_e32 v64, 0x7ffffff8, v98
	v_cmp_gt_i32_e64 s8, s14, v100
	s_delay_alu instid0(VALU_DEP_2) | instskip(NEXT) | instid1(VALU_DEP_2)
	v_cmp_eq_u64_e32 vcc_lo, 0x7ffffff8, v[64:65]
	s_and_b32 s8, vcc_lo, s8
	s_delay_alu instid0(SALU_CYCLE_1)
	s_and_saveexec_b32 s9, s8
	s_cbranch_execz .LBB4_166
; %bb.164:                              ;   in Loop: Header=BB4_81 Depth=2
	v_and_b32_e32 v17, 7, v150
	v_ashrrev_i32_e32 v101, 31, v100
	v_mov_b32_e32 v21, v98
	s_mov_b32 s17, 0
	s_delay_alu instid0(VALU_DEP_3) | instskip(SKIP_2) | instid1(VALU_DEP_2)
	v_mul_lo_u32 v17, s14, v17
	s_waitcnt vmcnt(0) lgkmcnt(0)
	v_lshlrev_b64 v[19:20], 4, v[100:101]
	v_ashrrev_i32_e32 v18, 31, v17
	s_delay_alu instid0(VALU_DEP_1) | instskip(NEXT) | instid1(VALU_DEP_1)
	v_lshlrev_b64 v[17:18], 4, v[17:18]
	v_add_co_u32 v19, vcc_lo, v19, v17
	s_delay_alu instid0(VALU_DEP_2) | instskip(SKIP_2) | instid1(VALU_DEP_4)
	v_add_co_ci_u32_e32 v20, vcc_lo, v20, v18, vcc_lo
	v_add_co_u32 v17, vcc_lo, 0, 0
	v_add_co_ci_u32_e32 v18, vcc_lo, 1, v21, vcc_lo
	v_add_co_u32 v21, vcc_lo, v48, v19
	s_delay_alu instid0(VALU_DEP_4)
	v_add_co_ci_u32_e32 v22, vcc_lo, v49, v20, vcc_lo
.LBB4_165:                              ;   Parent Loop BB4_32 Depth=1
                                        ;     Parent Loop BB4_81 Depth=2
                                        ; =>    This Inner Loop Header: Depth=3
	s_delay_alu instid0(VALU_DEP_4) | instskip(NEXT) | instid1(VALU_DEP_4)
	v_dual_mov_b32 v19, v17 :: v_dual_add_nc_u32 v100, v100, v1
	v_mov_b32_e32 v20, v18
	s_delay_alu instid0(VALU_DEP_2) | instskip(SKIP_2) | instid1(VALU_DEP_1)
	v_cmp_le_i32_e32 vcc_lo, s14, v100
	global_store_b128 v[21:22], v[17:20], off
	v_add_co_u32 v21, s8, v21, v86
	v_add_co_ci_u32_e64 v22, s8, v22, v87, s8
	s_or_b32 s17, vcc_lo, s17
	s_delay_alu instid0(SALU_CYCLE_1)
	s_and_not1_b32 exec_lo, exec_lo, s17
	s_cbranch_execnz .LBB4_165
.LBB4_166:                              ;   in Loop: Header=BB4_81 Depth=2
	s_or_b32 exec_lo, exec_lo, s9
	v_add_co_u32 v34, vcc_lo, v34, 1
	v_add_co_ci_u32_e32 v35, vcc_lo, 0, v35, vcc_lo
	v_add_co_u32 v98, vcc_lo, v98, 1
	v_add_co_ci_u32_e32 v99, vcc_lo, 0, v99, vcc_lo
	v_add_nc_u16 v150, v150, 1
	s_add_i32 s16, s16, 1
	s_delay_alu instid0(SALU_CYCLE_1)
	s_cmp_eq_u32 s16, s10
	s_cbranch_scc0 .LBB4_81
.LBB4_167:                              ;   in Loop: Header=BB4_32 Depth=1
	s_delay_alu instid0(VALU_DEP_1)
	v_dual_mov_b32 v21, v98 :: v_dual_mov_b32 v22, v99
	s_and_saveexec_b32 s9, s7
	s_cbranch_execz .LBB4_189
; %bb.168:                              ;   in Loop: Header=BB4_32 Depth=1
	s_waitcnt vmcnt(0) lgkmcnt(0)
	flat_load_b32 v19, v[23:24]
	v_and_b32_e32 v64, 7, v34
	s_mov_b32 s16, 0
	s_delay_alu instid0(VALU_DEP_1)
	v_mul_lo_u32 v98, v64, s14
	v_add_nc_u32_e32 v64, 1, v34
	s_waitcnt vmcnt(0) lgkmcnt(0)
	v_ashrrev_i32_e32 v20, 31, v19
	v_mul_lo_u32 v99, v69, v19
	v_mad_u64_u32 v[17:18], null, v68, v19, 0
	s_delay_alu instid0(VALU_DEP_3) | instskip(SKIP_1) | instid1(VALU_DEP_2)
	v_mul_lo_u32 v100, v68, v20
	v_lshlrev_b64 v[19:20], 3, v[96:97]
	v_add3_u32 v18, v18, v100, v99
	s_delay_alu instid0(VALU_DEP_2) | instskip(SKIP_1) | instid1(VALU_DEP_4)
	v_add_co_u32 v100, vcc_lo, v11, v19
	v_ashrrev_i32_e32 v99, 31, v98
	v_add_co_ci_u32_e32 v101, vcc_lo, v12, v20, vcc_lo
	s_delay_alu instid0(VALU_DEP_4) | instskip(SKIP_3) | instid1(VALU_DEP_4)
	v_lshlrev_b64 v[17:18], 3, v[17:18]
	v_add_co_u32 v96, vcc_lo, v130, v19
	v_add_co_ci_u32_e32 v97, vcc_lo, v131, v20, vcc_lo
	v_lshlrev_b64 v[19:20], 4, v[98:99]
	v_add_co_u32 v17, vcc_lo, v100, v17
	v_add_co_ci_u32_e32 v18, vcc_lo, v101, v18, vcc_lo
	v_mov_b32_e32 v100, v4
	s_delay_alu instid0(VALU_DEP_4)
	v_add_co_u32 v114, vcc_lo, v32, v19
	v_add_co_ci_u32_e32 v115, vcc_lo, v33, v20, vcc_lo
	v_add_co_u32 v98, vcc_lo, v17, v80
	v_add_co_ci_u32_e32 v99, vcc_lo, v18, v81, vcc_lo
	s_branch .LBB4_170
.LBB4_169:                              ;   in Loop: Header=BB4_170 Depth=2
	v_sub_nc_u32_e32 v147, v147, v1
	v_add_co_u32 v98, vcc_lo, v98, v82
	v_add_co_ci_u32_e32 v99, vcc_lo, v99, v83, vcc_lo
	s_delay_alu instid0(VALU_DEP_3) | instskip(SKIP_1) | instid1(VALU_DEP_1)
	v_cmp_gt_i32_e32 vcc_lo, 1, v147
	v_add_co_u32 v96, s7, v96, v82
	v_add_co_ci_u32_e64 v97, s7, v97, v83, s7
	v_add_nc_u32_e32 v100, v100, v1
	s_or_b32 s16, vcc_lo, s16
	s_delay_alu instid0(SALU_CYCLE_1)
	s_and_not1_b32 exec_lo, exec_lo, s16
	s_cbranch_execz .LBB4_188
.LBB4_170:                              ;   Parent Loop BB4_32 Depth=1
                                        ; =>  This Loop Header: Depth=2
                                        ;       Child Loop BB4_174 Depth 3
	flat_load_b64 v[102:103], v[98:99] glc
	v_ashrrev_i32_e32 v101, 31, v100
	s_delay_alu instid0(VALU_DEP_1) | instskip(NEXT) | instid1(VALU_DEP_1)
	v_lshlrev_b64 v[17:18], 4, v[100:101]
	v_add_co_u32 v112, vcc_lo, v114, v17
	s_delay_alu instid0(VALU_DEP_2)
	v_add_co_ci_u32_e32 v113, vcc_lo, v115, v18, vcc_lo
	v_cmp_eq_u32_e32 vcc_lo, 0, v145
	;;#ASMSTART
	global_load_b128 v[17:20], v[112:113], off glc slc dlc
s_waitcnt vmcnt(0)

	;;#ASMEND
	s_and_saveexec_b32 s17, vcc_lo
	s_cbranch_execz .LBB4_184
; %bb.171:                              ;   in Loop: Header=BB4_170 Depth=2
	v_cmp_ne_u32_e64 s7, v64, v18
	v_cmp_ne_u32_e64 s8, v64, v20
	v_mov_b32_e32 v145, 0
	s_delay_alu instid0(VALU_DEP_2) | instskip(NEXT) | instid1(SALU_CYCLE_1)
	s_or_b32 s7, s7, s8
	s_and_saveexec_b32 s8, s7
	s_cbranch_execz .LBB4_183
; %bb.172:                              ;   in Loop: Header=BB4_170 Depth=2
	v_cndmask_b32_e64 v101, 0, 1, vcc_lo
	s_mov_b32 s18, 0
                                        ; implicit-def: $sgpr19
                                        ; implicit-def: $sgpr20
	s_branch .LBB4_174
.LBB4_173:                              ;   in Loop: Header=BB4_174 Depth=3
	s_or_b32 exec_lo, exec_lo, s21
	s_delay_alu instid0(SALU_CYCLE_1) | instskip(NEXT) | instid1(SALU_CYCLE_1)
	s_and_b32 s7, exec_lo, s7
	s_or_b32 s18, s7, s18
	s_and_not1_b32 s7, s19, exec_lo
	s_and_b32 s19, s20, exec_lo
	s_delay_alu instid0(SALU_CYCLE_1)
	s_or_b32 s19, s7, s19
	s_and_not1_b32 exec_lo, exec_lo, s18
	s_cbranch_execz .LBB4_182
.LBB4_174:                              ;   Parent Loop BB4_32 Depth=1
                                        ;     Parent Loop BB4_170 Depth=2
                                        ; =>    This Inner Loop Header: Depth=3
	s_delay_alu instid0(VALU_DEP_1)
	v_add_nc_u32_e32 v101, 1, v101
	v_mov_b32_e32 v145, 0
	s_mov_b32 s7, -1
	s_mov_b32 s22, -1
	s_mov_b32 s21, exec_lo
	;;#ASMSTART
	global_load_b128 v[17:20], v[112:113], off glc slc dlc
s_waitcnt vmcnt(0)

	;;#ASMEND
	v_cmpx_eq_u32_e32 0x2710, v101
	s_cbranch_execz .LBB4_180
; %bb.175:                              ;   in Loop: Header=BB4_174 Depth=3
	s_cbranch_execnz .LBB4_231
; %bb.176:                              ;   in Loop: Header=BB4_174 Depth=3
	ds_load_b64 v[116:117], v0
	v_mov_b32_e32 v101, 0
	v_mov_b32_e32 v145, 0
	s_mov_b32 s23, -1
	s_mov_b32 s22, exec_lo
	s_waitcnt vmcnt(0) lgkmcnt(0)
	s_waitcnt_vscnt null, 0x0
	flat_load_b32 v116, v[116:117] glc
	s_waitcnt vmcnt(0) lgkmcnt(0)
	buffer_gl1_inv
	buffer_gl0_inv
	v_cmpx_ne_u32_e32 0, v116
	s_cbranch_execz .LBB4_179
; %bb.177:                              ;   in Loop: Header=BB4_174 Depth=3
	ds_store_b32 v0, v116
	s_cbranch_execnz .LBB4_243
; %bb.178:                              ;   in Loop: Header=BB4_174 Depth=3
	v_mov_b32_e32 v145, 1
	s_xor_b32 s23, exec_lo, -1
.LBB4_179:                              ;   in Loop: Header=BB4_174 Depth=3
	s_or_b32 exec_lo, exec_lo, s22
	s_delay_alu instid0(SALU_CYCLE_1)
	s_or_not1_b32 s22, s23, exec_lo
.LBB4_180:                              ;   in Loop: Header=BB4_174 Depth=3
	s_or_b32 exec_lo, exec_lo, s21
	s_delay_alu instid0(SALU_CYCLE_1)
	s_or_b32 s20, s20, exec_lo
	s_and_saveexec_b32 s21, s22
	s_cbranch_execz .LBB4_173
; %bb.181:                              ;   in Loop: Header=BB4_174 Depth=3
	v_cmp_eq_u32_e32 vcc_lo, v64, v18
	v_cmp_eq_u32_e64 s7, v64, v20
	s_and_not1_b32 s20, s20, exec_lo
	s_delay_alu instid0(VALU_DEP_1) | instskip(NEXT) | instid1(SALU_CYCLE_1)
	s_and_b32 s7, vcc_lo, s7
	s_or_not1_b32 s7, s7, exec_lo
	s_branch .LBB4_173
.LBB4_182:                              ;   in Loop: Header=BB4_170 Depth=2
	s_or_b32 exec_lo, exec_lo, s18
	s_xor_b32 s7, s19, -1
	s_delay_alu instid0(SALU_CYCLE_1) | instskip(NEXT) | instid1(SALU_CYCLE_1)
	s_and_saveexec_b32 s18, s7
	s_xor_b32 s7, exec_lo, s18
	s_delay_alu instid0(SALU_CYCLE_1) | instskip(NEXT) | instid1(SALU_CYCLE_1)
	s_and_not1_saveexec_b32 s7, s7
	s_or_b32 exec_lo, exec_lo, s7
.LBB4_183:                              ;   in Loop: Header=BB4_170 Depth=2
	s_delay_alu instid0(SALU_CYCLE_1)
	s_or_b32 exec_lo, exec_lo, s8
.LBB4_184:                              ;   in Loop: Header=BB4_170 Depth=2
	s_delay_alu instid0(SALU_CYCLE_1)
	s_or_b32 exec_lo, exec_lo, s17
	v_xor_b32_e32 v113, v19, v28
	v_xor_b32_e32 v112, v17, v27
	s_waitcnt vmcnt(0) lgkmcnt(0)
	v_xor_b32_e32 v117, v103, v28
	v_xor_b32_e32 v116, v102, v27
	s_delay_alu instid0(VALU_DEP_1) | instskip(SKIP_2) | instid1(VALU_DEP_1)
	v_cmp_lt_u64_e32 vcc_lo, v[112:113], v[116:117]
	v_dual_mov_b32 v18, v132 :: v_dual_cndmask_b32 v17, v102, v17
	;;#ASMSTART
	;;#ASMEND
	v_cmp_ne_u32_e64 s7, 0, v18
	v_cndmask_b32_e32 v18, v103, v19, vcc_lo
	s_delay_alu instid0(VALU_DEP_2)
	s_cmp_lg_u32 s7, exec_lo
	s_mov_b32 s7, -1
	s_cbranch_scc0 .LBB4_186
; %bb.185:                              ;   in Loop: Header=BB4_170 Depth=2
	s_mov_b32 s7, 0
	flat_store_b64 v[96:97], v[17:18]
.LBB4_186:                              ;   in Loop: Header=BB4_170 Depth=2
	s_and_not1_b32 vcc_lo, exec_lo, s7
	s_cbranch_vccnz .LBB4_169
; %bb.187:                              ;   in Loop: Header=BB4_170 Depth=2
	global_store_b64 v[96:97], v[17:18], off
	s_branch .LBB4_169
.LBB4_188:                              ;   in Loop: Header=BB4_32 Depth=1
	s_or_b32 exec_lo, exec_lo, s16
.LBB4_189:                              ;   in Loop: Header=BB4_32 Depth=1
	s_delay_alu instid0(SALU_CYCLE_1)
	s_or_b32 exec_lo, exec_lo, s9
	s_and_saveexec_b32 s7, s3
	s_cbranch_execz .LBB4_211
; %bb.190:                              ;   in Loop: Header=BB4_32 Depth=1
	s_and_saveexec_b32 s8, s4
	s_delay_alu instid0(SALU_CYCLE_1)
	s_xor_b32 s8, exec_lo, s8
	s_cbranch_execz .LBB4_208
; %bb.191:                              ;   in Loop: Header=BB4_32 Depth=1
	s_and_saveexec_b32 s9, s5
	s_cbranch_execz .LBB4_207
; %bb.192:                              ;   in Loop: Header=BB4_32 Depth=1
	s_mov_b32 s17, exec_lo
	s_mov_b32 s16, exec_lo
	v_mbcnt_lo_u32_b32 v17, s17, 0
	s_waitcnt vmcnt(0) lgkmcnt(0)
	s_waitcnt_vscnt null, 0x0
	buffer_gl1_inv
	buffer_gl0_inv
	v_cmpx_eq_u32_e32 0, v17
	s_cbranch_execz .LBB4_194
; %bb.193:                              ;   in Loop: Header=BB4_32 Depth=1
	s_bcnt1_i32_b32 s17, s17
	s_delay_alu instid0(SALU_CYCLE_1)
	v_mov_b32_e32 v64, s17
	ds_add_u64 v0, v[64:65]
	s_cbranch_execnz .LBB4_280
.LBB4_194:                              ;   in Loop: Header=BB4_32 Depth=1
	s_or_b32 exec_lo, exec_lo, s16
	s_cbranch_execnz .LBB4_268
; %bb.195:                              ;   in Loop: Header=BB4_32 Depth=1
	ds_load_b64 v[17:18], v0
	v_add_co_u32 v2, vcc_lo, v2, v118
	v_add_co_ci_u32_e32 v3, vcc_lo, v3, v119, vcc_lo
	s_mov_b32 s16, exec_lo
	s_waitcnt lgkmcnt(0)
	s_delay_alu instid0(VALU_DEP_1)
	v_cmpx_lt_u64_e64 v[17:18], v[2:3]
	s_cbranch_execz .LBB4_206
; %bb.196:                              ;   in Loop: Header=BB4_32 Depth=1
	s_mov_b32 s17, 0
	s_mov_b32 s20, 0
                                        ; implicit-def: $sgpr18
                                        ; implicit-def: $sgpr19
	s_branch .LBB4_198
.LBB4_197:                              ;   in Loop: Header=BB4_198 Depth=2
	s_or_b32 exec_lo, exec_lo, s23
	s_delay_alu instid0(SALU_CYCLE_1) | instskip(NEXT) | instid1(SALU_CYCLE_1)
	s_and_b32 s21, exec_lo, s22
	s_or_b32 s17, s21, s17
	s_and_not1_b32 s18, s18, exec_lo
	s_and_b32 s21, s19, exec_lo
	s_delay_alu instid0(SALU_CYCLE_1)
	s_or_b32 s18, s18, s21
	s_and_not1_b32 exec_lo, exec_lo, s17
	s_cbranch_execz .LBB4_204
.LBB4_198:                              ;   Parent Loop BB4_32 Depth=1
                                        ; =>  This Inner Loop Header: Depth=2
	s_add_i32 s20, s20, 1
                                        ; implicit-def: $sgpr22
	s_delay_alu instid0(SALU_CYCLE_1) | instskip(SKIP_1) | instid1(SALU_CYCLE_1)
	s_cmpk_lg_i32 s20, 0x2710
	s_cselect_b32 s21, -1, 0
	s_and_b32 vcc_lo, exec_lo, s21
	s_cbranch_vccz .LBB4_202
.LBB4_199:                              ;   in Loop: Header=BB4_198 Depth=2
	s_and_not1_b32 s19, s19, exec_lo
	s_and_b32 s23, s22, exec_lo
	s_mov_b32 s22, -1
	s_or_b32 s19, s19, s23
	s_and_saveexec_b32 s23, s21
	s_cbranch_execz .LBB4_197
; %bb.200:                              ;   in Loop: Header=BB4_198 Depth=2
	s_sleep 1
	s_cbranch_execnz .LBB4_288
; %bb.201:                              ;   in Loop: Header=BB4_198 Depth=2
	ds_load_b64 v[17:18], v0
	s_and_not1_b32 s19, s19, exec_lo
	s_waitcnt lgkmcnt(0)
	v_cmp_ge_u64_e32 vcc_lo, v[17:18], v[2:3]
	s_or_not1_b32 s22, vcc_lo, exec_lo
	s_branch .LBB4_197
.LBB4_202:                              ;   in Loop: Header=BB4_198 Depth=2
	s_cbranch_execnz .LBB4_290
; %bb.203:                              ;   in Loop: Header=BB4_198 Depth=2
	ds_load_b64 v[17:18], v0
	s_and_not1_b32 s21, s21, exec_lo
	s_mov_b32 s20, 0
	s_mov_b32 s22, -1
	s_waitcnt lgkmcnt(0)
	flat_load_b32 v17, v[17:18] glc
	s_waitcnt vmcnt(0) lgkmcnt(0)
	buffer_gl1_inv
	buffer_gl0_inv
	v_cmp_eq_u32_e32 vcc_lo, 0, v17
	s_and_b32 s23, vcc_lo, exec_lo
	s_delay_alu instid0(SALU_CYCLE_1)
	s_or_b32 s21, s21, s23
	s_branch .LBB4_199
.LBB4_204:                              ;   in Loop: Header=BB4_32 Depth=1
	s_or_b32 exec_lo, exec_lo, s17
	s_and_saveexec_b32 s17, s18
	s_delay_alu instid0(SALU_CYCLE_1)
	s_xor_b32 s17, exec_lo, s17
	s_cbranch_execz .LBB4_206
; %bb.205:                              ;   in Loop: Header=BB4_32 Depth=1
	ds_store_b32 v0, v144
	s_cbranch_execnz .LBB4_307
.LBB4_206:                              ;   in Loop: Header=BB4_32 Depth=1
	s_or_b32 exec_lo, exec_lo, s16
	;;#ASMSTART
	s_wakeup
	;;#ASMEND
.LBB4_207:                              ;   in Loop: Header=BB4_32 Depth=1
	s_or_b32 exec_lo, exec_lo, s9
.LBB4_208:                              ;   in Loop: Header=BB4_32 Depth=1
	s_and_not1_saveexec_b32 s8, s8
	s_cbranch_execz .LBB4_210
; %bb.209:                              ;   in Loop: Header=BB4_32 Depth=1
	s_waitcnt vmcnt(0) lgkmcnt(0)
	s_waitcnt_vscnt null, 0x0
	buffer_gl1_inv
	buffer_gl0_inv
	s_barrier
.LBB4_210:                              ;   in Loop: Header=BB4_32 Depth=1
	s_or_b32 exec_lo, exec_lo, s8
.LBB4_211:                              ;   in Loop: Header=BB4_32 Depth=1
	s_delay_alu instid0(SALU_CYCLE_1)
	s_or_b32 exec_lo, exec_lo, s7
	s_and_saveexec_b32 s7, s6
	s_cbranch_execz .LBB4_213
; %bb.212:                              ;   in Loop: Header=BB4_32 Depth=1
	v_add_co_u32 v50, vcc_lo, v50, 1
	v_add_co_ci_u32_e32 v51, vcc_lo, 0, v51, vcc_lo
	s_waitcnt vmcnt(0) lgkmcnt(0)
	s_waitcnt_vscnt null, 0x0
	flat_store_b64 v[38:39], v[50:51]
.LBB4_213:                              ;   in Loop: Header=BB4_32 Depth=1
	s_or_b32 exec_lo, exec_lo, s7
	v_add_co_u32 v84, vcc_lo, v84, v66
	v_add_co_ci_u32_e32 v85, vcc_lo, 0, v85, vcc_lo
	v_add_co_u32 v34, vcc_lo, v34, 1
	v_add_co_ci_u32_e32 v35, vcc_lo, 0, v35, vcc_lo
	s_delay_alu instid0(VALU_DEP_3) | instskip(SKIP_1) | instid1(VALU_DEP_1)
	v_cmp_ge_u64_e32 vcc_lo, v[84:85], v[7:8]
	v_add_co_u32 v9, s7, v9, v133
	v_add_co_ci_u32_e64 v10, s7, 0, v10, s7
	s_or_b32 s11, vcc_lo, s11
	s_delay_alu instid0(SALU_CYCLE_1)
	s_and_not1_b32 exec_lo, exec_lo, s11
	s_cbranch_execnz .LBB4_32
; %bb.214:
	s_or_b32 exec_lo, exec_lo, s11
.LBB4_215:
	s_delay_alu instid0(SALU_CYCLE_1)
	s_or_b32 exec_lo, exec_lo, s13
	s_and_saveexec_b32 s1, s12
	s_cbranch_execz .LBB4_217
; %bb.216:
	s_waitcnt vmcnt(0) lgkmcnt(0)
	flat_store_b64 v[29:30], v[50:51] offset:104
.LBB4_217:
	s_or_b32 exec_lo, exec_lo, s1
	s_and_saveexec_b32 s1, s0
	s_cbranch_execz .LBB4_219
; %bb.218:
	s_waitcnt vmcnt(0) lgkmcnt(0)
	flat_store_b64 v[36:37], v[15:16] offset:104
.LBB4_219:
	s_or_b32 exec_lo, exec_lo, s1
	s_delay_alu instid0(SALU_CYCLE_1)
	s_mov_b32 s0, exec_lo
	v_cmpx_ne_u32_e32 32, v1
	s_cbranch_execz .LBB4_298
; %bb.220:
	s_mov_b32 s1, exec_lo
	v_cmpx_ne_u32_e64 v0, v1
	s_xor_b32 s1, exec_lo, s1
	s_cbranch_execz .LBB4_296
; %bb.221:
	v_and_b32_e32 v0, 31, v31
	s_mov_b32 s2, exec_lo
	s_delay_alu instid0(VALU_DEP_1)
	v_cmpx_eq_u32_e32 0, v0
	s_cbranch_execz .LBB4_295
; %bb.222:
	s_mov_b32 s4, exec_lo
	s_mov_b32 s3, exec_lo
	v_mbcnt_lo_u32_b32 v0, s4, 0
	s_waitcnt vmcnt(0) lgkmcnt(0)
	s_waitcnt_vscnt null, 0x0
	buffer_gl1_inv
	buffer_gl0_inv
	v_cmpx_eq_u32_e32 0, v0
	s_cbranch_execz .LBB4_224
; %bb.223:
	s_bcnt1_i32_b32 s4, s4
	s_delay_alu instid0(SALU_CYCLE_1)
	v_dual_mov_b32 v5, 0 :: v_dual_mov_b32 v4, s4
	ds_add_u64 v0, v[4:5]
	s_cbranch_execnz .LBB4_256
.LBB4_224:
	s_or_b32 exec_lo, exec_lo, s3
	s_cbranch_execnz .LBB4_241
; %bb.225:
	v_ashrrev_i32_e32 v0, 31, v1
	s_mov_b32 s3, exec_lo
	s_delay_alu instid0(VALU_DEP_1) | instskip(NEXT) | instid1(VALU_DEP_1)
	v_lshrrev_b32_e32 v0, 27, v0
	v_add_nc_u32_e32 v0, v1, v0
	ds_load_b64 v[4:5], v0
	v_ashrrev_i32_e32 v0, 5, v0
	s_delay_alu instid0(VALU_DEP_1) | instskip(SKIP_1) | instid1(VALU_DEP_2)
	v_ashrrev_i32_e32 v1, 31, v0
	v_add_co_u32 v0, vcc_lo, v2, v0
	v_add_co_ci_u32_e32 v1, vcc_lo, v3, v1, vcc_lo
	s_waitcnt lgkmcnt(0)
	s_delay_alu instid0(VALU_DEP_1)
	v_cmpx_lt_u64_e64 v[4:5], v[0:1]
	s_cbranch_execz .LBB4_294
; %bb.226:
	s_mov_b32 s4, 0
	s_mov_b32 s7, 0
                                        ; implicit-def: $sgpr5
                                        ; implicit-def: $sgpr6
	s_branch .LBB4_246
.LBB4_227:
	s_trap 2
	s_sendmsg_rtn_b32 s0, sendmsg(MSG_RTN_GET_DOORBELL)
	s_mov_b32 ttmp2, m0
	s_waitcnt lgkmcnt(0)
	s_and_b32 s0, s0, 0x3ff
	s_delay_alu instid0(SALU_CYCLE_1) | instskip(NEXT) | instid1(SALU_CYCLE_1)
	s_bitset1_b32 s0, 10
	s_mov_b32 m0, s0
	s_sendmsg sendmsg(MSG_INTERRUPT)
	s_mov_b32 m0, ttmp2
.LBB4_228:                              ; =>This Inner Loop Header: Depth=1
	s_sethalt 5
	s_branch .LBB4_228
.LBB4_229:
	s_trap 2
	s_sendmsg_rtn_b32 s0, sendmsg(MSG_RTN_GET_DOORBELL)
	s_mov_b32 ttmp2, m0
	s_waitcnt lgkmcnt(0)
	s_and_b32 s0, s0, 0x3ff
	s_delay_alu instid0(SALU_CYCLE_1) | instskip(NEXT) | instid1(SALU_CYCLE_1)
	s_bitset1_b32 s0, 10
	s_mov_b32 m0, s0
	s_sendmsg sendmsg(MSG_INTERRUPT)
	s_mov_b32 m0, ttmp2
.LBB4_230:                              ; =>This Inner Loop Header: Depth=1
	s_sethalt 5
	s_branch .LBB4_230
.LBB4_231:
	s_trap 2
	s_sendmsg_rtn_b32 s0, sendmsg(MSG_RTN_GET_DOORBELL)
	s_mov_b32 ttmp2, m0
	s_waitcnt lgkmcnt(0)
	s_and_b32 s0, s0, 0x3ff
	s_delay_alu instid0(SALU_CYCLE_1) | instskip(NEXT) | instid1(SALU_CYCLE_1)
	s_bitset1_b32 s0, 10
	s_mov_b32 m0, s0
	s_sendmsg sendmsg(MSG_INTERRUPT)
	s_mov_b32 m0, ttmp2
.LBB4_232:                              ; =>This Inner Loop Header: Depth=1
	s_sethalt 5
	s_branch .LBB4_232
.LBB4_233:
	s_trap 2
	s_sendmsg_rtn_b32 s0, sendmsg(MSG_RTN_GET_DOORBELL)
	s_mov_b32 ttmp2, m0
	s_waitcnt lgkmcnt(0)
	s_and_b32 s0, s0, 0x3ff
	s_delay_alu instid0(SALU_CYCLE_1) | instskip(NEXT) | instid1(SALU_CYCLE_1)
	s_bitset1_b32 s0, 10
	s_mov_b32 m0, s0
	s_sendmsg sendmsg(MSG_INTERRUPT)
	s_mov_b32 m0, ttmp2
.LBB4_234:                              ; =>This Inner Loop Header: Depth=1
	s_sethalt 5
	s_branch .LBB4_234
.LBB4_235:
	s_trap 2
	s_sendmsg_rtn_b32 s0, sendmsg(MSG_RTN_GET_DOORBELL)
	s_mov_b32 ttmp2, m0
	s_waitcnt lgkmcnt(0)
	s_and_b32 s0, s0, 0x3ff
	s_delay_alu instid0(SALU_CYCLE_1) | instskip(NEXT) | instid1(SALU_CYCLE_1)
	s_bitset1_b32 s0, 10
	s_mov_b32 m0, s0
	s_sendmsg sendmsg(MSG_INTERRUPT)
	s_mov_b32 m0, ttmp2
.LBB4_236:                              ; =>This Inner Loop Header: Depth=1
	s_sethalt 5
	s_branch .LBB4_236
.LBB4_237:
	s_trap 2
	s_sendmsg_rtn_b32 s0, sendmsg(MSG_RTN_GET_DOORBELL)
	s_mov_b32 ttmp2, m0
	s_waitcnt lgkmcnt(0)
	s_and_b32 s0, s0, 0x3ff
	s_delay_alu instid0(SALU_CYCLE_1) | instskip(NEXT) | instid1(SALU_CYCLE_1)
	s_bitset1_b32 s0, 10
	s_mov_b32 m0, s0
	s_sendmsg sendmsg(MSG_INTERRUPT)
	s_mov_b32 m0, ttmp2
.LBB4_238:                              ; =>This Inner Loop Header: Depth=1
	s_sethalt 5
	s_branch .LBB4_238
.LBB4_239:
	s_trap 2
	s_sendmsg_rtn_b32 s0, sendmsg(MSG_RTN_GET_DOORBELL)
	s_mov_b32 ttmp2, m0
	s_waitcnt lgkmcnt(0)
	s_and_b32 s0, s0, 0x3ff
	s_delay_alu instid0(SALU_CYCLE_1) | instskip(NEXT) | instid1(SALU_CYCLE_1)
	s_bitset1_b32 s0, 10
	s_mov_b32 m0, s0
	s_sendmsg sendmsg(MSG_INTERRUPT)
	s_mov_b32 m0, ttmp2
.LBB4_240:                              ; =>This Inner Loop Header: Depth=1
	s_sethalt 5
	s_branch .LBB4_240
.LBB4_241:
	s_trap 2
	s_sendmsg_rtn_b32 s0, sendmsg(MSG_RTN_GET_DOORBELL)
	s_mov_b32 ttmp2, m0
	s_waitcnt lgkmcnt(0)
	s_and_b32 s0, s0, 0x3ff
	s_delay_alu instid0(SALU_CYCLE_1) | instskip(NEXT) | instid1(SALU_CYCLE_1)
	s_bitset1_b32 s0, 10
	s_mov_b32 m0, s0
	s_sendmsg sendmsg(MSG_INTERRUPT)
	s_mov_b32 m0, ttmp2
.LBB4_242:                              ; =>This Inner Loop Header: Depth=1
	s_sethalt 5
	s_branch .LBB4_242
.LBB4_243:
	s_trap 2
	s_sendmsg_rtn_b32 s0, sendmsg(MSG_RTN_GET_DOORBELL)
	s_mov_b32 ttmp2, m0
	s_waitcnt lgkmcnt(0)
	s_and_b32 s0, s0, 0x3ff
	s_delay_alu instid0(SALU_CYCLE_1) | instskip(NEXT) | instid1(SALU_CYCLE_1)
	s_bitset1_b32 s0, 10
	s_mov_b32 m0, s0
	s_sendmsg sendmsg(MSG_INTERRUPT)
	s_mov_b32 m0, ttmp2
.LBB4_244:                              ; =>This Inner Loop Header: Depth=1
	s_sethalt 5
	s_branch .LBB4_244
.LBB4_245:                              ;   in Loop: Header=BB4_246 Depth=1
	s_or_b32 exec_lo, exec_lo, s10
	s_delay_alu instid0(SALU_CYCLE_1) | instskip(NEXT) | instid1(SALU_CYCLE_1)
	s_and_b32 s8, exec_lo, s9
	s_or_b32 s4, s8, s4
	s_and_not1_b32 s5, s5, exec_lo
	s_and_b32 s8, s6, exec_lo
	s_delay_alu instid0(SALU_CYCLE_1)
	s_or_b32 s5, s5, s8
	s_and_not1_b32 exec_lo, exec_lo, s4
	s_cbranch_execz .LBB4_292
.LBB4_246:                              ; =>This Inner Loop Header: Depth=1
	s_add_i32 s7, s7, 1
                                        ; implicit-def: $sgpr9
	s_delay_alu instid0(SALU_CYCLE_1) | instskip(SKIP_1) | instid1(SALU_CYCLE_1)
	s_cmpk_lg_i32 s7, 0x2710
	s_cselect_b32 s8, -1, 0
	s_and_b32 vcc_lo, exec_lo, s8
	s_cbranch_vccz .LBB4_250
.LBB4_247:                              ;   in Loop: Header=BB4_246 Depth=1
	s_and_not1_b32 s6, s6, exec_lo
	s_and_b32 s10, s9, exec_lo
	s_mov_b32 s9, -1
	s_or_b32 s6, s6, s10
	s_and_saveexec_b32 s10, s8
	s_cbranch_execz .LBB4_245
; %bb.248:                              ;   in Loop: Header=BB4_246 Depth=1
	s_sleep 1
	s_cbranch_execnz .LBB4_270
; %bb.249:                              ;   in Loop: Header=BB4_246 Depth=1
	ds_load_b64 v[2:3], v0
	s_and_not1_b32 s6, s6, exec_lo
	s_waitcnt lgkmcnt(0)
	v_cmp_ge_u64_e32 vcc_lo, v[2:3], v[0:1]
	s_or_not1_b32 s9, vcc_lo, exec_lo
	s_branch .LBB4_245
.LBB4_250:                              ;   in Loop: Header=BB4_246 Depth=1
	s_cbranch_execnz .LBB4_276
; %bb.251:                              ;   in Loop: Header=BB4_246 Depth=1
	ds_load_b64 v[2:3], v0
	s_and_not1_b32 s8, s8, exec_lo
	s_mov_b32 s7, 0
	s_mov_b32 s9, -1
	s_waitcnt lgkmcnt(0)
	flat_load_b32 v2, v[2:3] glc
	s_waitcnt vmcnt(0) lgkmcnt(0)
	buffer_gl1_inv
	buffer_gl0_inv
	v_cmp_eq_u32_e32 vcc_lo, 0, v2
	s_and_b32 s10, vcc_lo, exec_lo
	s_delay_alu instid0(SALU_CYCLE_1)
	s_or_b32 s8, s8, s10
	s_branch .LBB4_247
.LBB4_252:
	s_trap 2
	s_sendmsg_rtn_b32 s0, sendmsg(MSG_RTN_GET_DOORBELL)
	s_mov_b32 ttmp2, m0
	s_waitcnt lgkmcnt(0)
	s_and_b32 s0, s0, 0x3ff
	s_delay_alu instid0(SALU_CYCLE_1) | instskip(NEXT) | instid1(SALU_CYCLE_1)
	s_bitset1_b32 s0, 10
	s_mov_b32 m0, s0
	s_sendmsg sendmsg(MSG_INTERRUPT)
	s_mov_b32 m0, ttmp2
.LBB4_253:                              ; =>This Inner Loop Header: Depth=1
	s_sethalt 5
	s_branch .LBB4_253
.LBB4_254:
	s_trap 2
	s_sendmsg_rtn_b32 s0, sendmsg(MSG_RTN_GET_DOORBELL)
	s_mov_b32 ttmp2, m0
	s_waitcnt lgkmcnt(0)
	s_and_b32 s0, s0, 0x3ff
	s_delay_alu instid0(SALU_CYCLE_1) | instskip(NEXT) | instid1(SALU_CYCLE_1)
	s_bitset1_b32 s0, 10
	s_mov_b32 m0, s0
	s_sendmsg sendmsg(MSG_INTERRUPT)
	s_mov_b32 m0, ttmp2
.LBB4_255:                              ; =>This Inner Loop Header: Depth=1
	s_sethalt 5
	s_branch .LBB4_255
.LBB4_256:
	s_trap 2
	s_sendmsg_rtn_b32 s0, sendmsg(MSG_RTN_GET_DOORBELL)
	s_mov_b32 ttmp2, m0
	s_waitcnt lgkmcnt(0)
	s_and_b32 s0, s0, 0x3ff
	s_delay_alu instid0(SALU_CYCLE_1) | instskip(NEXT) | instid1(SALU_CYCLE_1)
	s_bitset1_b32 s0, 10
	s_mov_b32 m0, s0
	s_sendmsg sendmsg(MSG_INTERRUPT)
	s_mov_b32 m0, ttmp2
.LBB4_257:                              ; =>This Inner Loop Header: Depth=1
	s_sethalt 5
	s_branch .LBB4_257
.LBB4_258:
	s_trap 2
	s_sendmsg_rtn_b32 s0, sendmsg(MSG_RTN_GET_DOORBELL)
	s_mov_b32 ttmp2, m0
	s_waitcnt lgkmcnt(0)
	s_and_b32 s0, s0, 0x3ff
	s_delay_alu instid0(SALU_CYCLE_1) | instskip(NEXT) | instid1(SALU_CYCLE_1)
	s_bitset1_b32 s0, 10
	s_mov_b32 m0, s0
	s_sendmsg sendmsg(MSG_INTERRUPT)
	s_mov_b32 m0, ttmp2
.LBB4_259:                              ; =>This Inner Loop Header: Depth=1
	s_sethalt 5
	s_branch .LBB4_259
.LBB4_260:
	s_trap 2
	s_sendmsg_rtn_b32 s0, sendmsg(MSG_RTN_GET_DOORBELL)
	s_mov_b32 ttmp2, m0
	s_waitcnt lgkmcnt(0)
	s_and_b32 s0, s0, 0x3ff
	s_delay_alu instid0(SALU_CYCLE_1) | instskip(NEXT) | instid1(SALU_CYCLE_1)
	s_bitset1_b32 s0, 10
	s_mov_b32 m0, s0
	s_sendmsg sendmsg(MSG_INTERRUPT)
	s_mov_b32 m0, ttmp2
.LBB4_261:                              ; =>This Inner Loop Header: Depth=1
	s_sethalt 5
	s_branch .LBB4_261
.LBB4_262:
	s_trap 2
	s_sendmsg_rtn_b32 s0, sendmsg(MSG_RTN_GET_DOORBELL)
	s_mov_b32 ttmp2, m0
	s_waitcnt lgkmcnt(0)
	s_and_b32 s0, s0, 0x3ff
	s_delay_alu instid0(SALU_CYCLE_1) | instskip(NEXT) | instid1(SALU_CYCLE_1)
	s_bitset1_b32 s0, 10
	s_mov_b32 m0, s0
	s_sendmsg sendmsg(MSG_INTERRUPT)
	s_mov_b32 m0, ttmp2
.LBB4_263:                              ; =>This Inner Loop Header: Depth=1
	s_sethalt 5
	s_branch .LBB4_263
.LBB4_264:
	s_trap 2
	s_sendmsg_rtn_b32 s0, sendmsg(MSG_RTN_GET_DOORBELL)
	s_mov_b32 ttmp2, m0
	s_waitcnt lgkmcnt(0)
	s_and_b32 s0, s0, 0x3ff
	s_delay_alu instid0(SALU_CYCLE_1) | instskip(NEXT) | instid1(SALU_CYCLE_1)
	s_bitset1_b32 s0, 10
	s_mov_b32 m0, s0
	s_sendmsg sendmsg(MSG_INTERRUPT)
	s_mov_b32 m0, ttmp2
.LBB4_265:                              ; =>This Inner Loop Header: Depth=1
	s_sethalt 5
	s_branch .LBB4_265
.LBB4_266:
	s_trap 2
	s_sendmsg_rtn_b32 s0, sendmsg(MSG_RTN_GET_DOORBELL)
	s_mov_b32 ttmp2, m0
	s_waitcnt lgkmcnt(0)
	s_and_b32 s0, s0, 0x3ff
	s_delay_alu instid0(SALU_CYCLE_1) | instskip(NEXT) | instid1(SALU_CYCLE_1)
	s_bitset1_b32 s0, 10
	s_mov_b32 m0, s0
	s_sendmsg sendmsg(MSG_INTERRUPT)
	s_mov_b32 m0, ttmp2
.LBB4_267:                              ; =>This Inner Loop Header: Depth=1
	s_sethalt 5
	s_branch .LBB4_267
.LBB4_268:
	s_trap 2
	s_sendmsg_rtn_b32 s0, sendmsg(MSG_RTN_GET_DOORBELL)
	s_mov_b32 ttmp2, m0
	s_waitcnt lgkmcnt(0)
	s_and_b32 s0, s0, 0x3ff
	s_delay_alu instid0(SALU_CYCLE_1) | instskip(NEXT) | instid1(SALU_CYCLE_1)
	s_bitset1_b32 s0, 10
	s_mov_b32 m0, s0
	s_sendmsg sendmsg(MSG_INTERRUPT)
	s_mov_b32 m0, ttmp2
.LBB4_269:                              ; =>This Inner Loop Header: Depth=1
	s_sethalt 5
	s_branch .LBB4_269
.LBB4_270:
	s_trap 2
	s_sendmsg_rtn_b32 s0, sendmsg(MSG_RTN_GET_DOORBELL)
	s_mov_b32 ttmp2, m0
	s_waitcnt lgkmcnt(0)
	s_and_b32 s0, s0, 0x3ff
	s_delay_alu instid0(SALU_CYCLE_1) | instskip(NEXT) | instid1(SALU_CYCLE_1)
	s_bitset1_b32 s0, 10
	s_mov_b32 m0, s0
	s_sendmsg sendmsg(MSG_INTERRUPT)
	s_mov_b32 m0, ttmp2
.LBB4_271:                              ; =>This Inner Loop Header: Depth=1
	s_sethalt 5
	s_branch .LBB4_271
.LBB4_272:
	s_trap 2
	s_sendmsg_rtn_b32 s0, sendmsg(MSG_RTN_GET_DOORBELL)
	s_mov_b32 ttmp2, m0
	s_waitcnt lgkmcnt(0)
	s_and_b32 s0, s0, 0x3ff
	s_delay_alu instid0(SALU_CYCLE_1) | instskip(NEXT) | instid1(SALU_CYCLE_1)
	s_bitset1_b32 s0, 10
	s_mov_b32 m0, s0
	s_sendmsg sendmsg(MSG_INTERRUPT)
	s_mov_b32 m0, ttmp2
.LBB4_273:                              ; =>This Inner Loop Header: Depth=1
	s_sethalt 5
	s_branch .LBB4_273
.LBB4_274:
	s_trap 2
	s_sendmsg_rtn_b32 s0, sendmsg(MSG_RTN_GET_DOORBELL)
	s_mov_b32 ttmp2, m0
	s_waitcnt lgkmcnt(0)
	s_and_b32 s0, s0, 0x3ff
	s_delay_alu instid0(SALU_CYCLE_1) | instskip(NEXT) | instid1(SALU_CYCLE_1)
	s_bitset1_b32 s0, 10
	s_mov_b32 m0, s0
	s_sendmsg sendmsg(MSG_INTERRUPT)
	s_mov_b32 m0, ttmp2
.LBB4_275:                              ; =>This Inner Loop Header: Depth=1
	s_sethalt 5
	s_branch .LBB4_275
.LBB4_276:
	s_trap 2
	s_sendmsg_rtn_b32 s0, sendmsg(MSG_RTN_GET_DOORBELL)
	s_mov_b32 ttmp2, m0
	s_waitcnt lgkmcnt(0)
	s_and_b32 s0, s0, 0x3ff
	s_delay_alu instid0(SALU_CYCLE_1) | instskip(NEXT) | instid1(SALU_CYCLE_1)
	s_bitset1_b32 s0, 10
	s_mov_b32 m0, s0
	s_sendmsg sendmsg(MSG_INTERRUPT)
	s_mov_b32 m0, ttmp2
.LBB4_277:                              ; =>This Inner Loop Header: Depth=1
	s_sethalt 5
	s_branch .LBB4_277
.LBB4_278:
	s_trap 2
	s_sendmsg_rtn_b32 s0, sendmsg(MSG_RTN_GET_DOORBELL)
	s_mov_b32 ttmp2, m0
	s_waitcnt lgkmcnt(0)
	s_and_b32 s0, s0, 0x3ff
	s_delay_alu instid0(SALU_CYCLE_1) | instskip(NEXT) | instid1(SALU_CYCLE_1)
	s_bitset1_b32 s0, 10
	s_mov_b32 m0, s0
	s_sendmsg sendmsg(MSG_INTERRUPT)
	s_mov_b32 m0, ttmp2
.LBB4_279:                              ; =>This Inner Loop Header: Depth=1
	s_sethalt 5
	s_branch .LBB4_279
.LBB4_280:
	s_trap 2
	s_sendmsg_rtn_b32 s0, sendmsg(MSG_RTN_GET_DOORBELL)
	s_mov_b32 ttmp2, m0
	s_waitcnt lgkmcnt(0)
	s_and_b32 s0, s0, 0x3ff
	s_delay_alu instid0(SALU_CYCLE_1) | instskip(NEXT) | instid1(SALU_CYCLE_1)
	s_bitset1_b32 s0, 10
	s_mov_b32 m0, s0
	s_sendmsg sendmsg(MSG_INTERRUPT)
	s_mov_b32 m0, ttmp2
.LBB4_281:                              ; =>This Inner Loop Header: Depth=1
	s_sethalt 5
	s_branch .LBB4_281
.LBB4_282:
	s_trap 2
	s_sendmsg_rtn_b32 s0, sendmsg(MSG_RTN_GET_DOORBELL)
	s_mov_b32 ttmp2, m0
	s_waitcnt lgkmcnt(0)
	s_and_b32 s0, s0, 0x3ff
	s_delay_alu instid0(SALU_CYCLE_1) | instskip(NEXT) | instid1(SALU_CYCLE_1)
	s_bitset1_b32 s0, 10
	s_mov_b32 m0, s0
	s_sendmsg sendmsg(MSG_INTERRUPT)
	s_mov_b32 m0, ttmp2
.LBB4_283:                              ; =>This Inner Loop Header: Depth=1
	s_sethalt 5
	s_branch .LBB4_283
.LBB4_284:
	s_trap 2
	s_sendmsg_rtn_b32 s0, sendmsg(MSG_RTN_GET_DOORBELL)
	s_mov_b32 ttmp2, m0
	s_waitcnt lgkmcnt(0)
	s_and_b32 s0, s0, 0x3ff
	s_delay_alu instid0(SALU_CYCLE_1) | instskip(NEXT) | instid1(SALU_CYCLE_1)
	s_bitset1_b32 s0, 10
	s_mov_b32 m0, s0
	s_sendmsg sendmsg(MSG_INTERRUPT)
	s_mov_b32 m0, ttmp2
.LBB4_285:                              ; =>This Inner Loop Header: Depth=1
	s_sethalt 5
	s_branch .LBB4_285
.LBB4_286:
	s_trap 2
	s_sendmsg_rtn_b32 s0, sendmsg(MSG_RTN_GET_DOORBELL)
	s_mov_b32 ttmp2, m0
	s_waitcnt lgkmcnt(0)
	s_and_b32 s0, s0, 0x3ff
	s_delay_alu instid0(SALU_CYCLE_1) | instskip(NEXT) | instid1(SALU_CYCLE_1)
	s_bitset1_b32 s0, 10
	s_mov_b32 m0, s0
	s_sendmsg sendmsg(MSG_INTERRUPT)
	s_mov_b32 m0, ttmp2
.LBB4_287:                              ; =>This Inner Loop Header: Depth=1
	s_sethalt 5
	s_branch .LBB4_287
.LBB4_288:
	s_trap 2
	s_sendmsg_rtn_b32 s0, sendmsg(MSG_RTN_GET_DOORBELL)
	s_mov_b32 ttmp2, m0
	s_waitcnt lgkmcnt(0)
	s_and_b32 s0, s0, 0x3ff
	s_delay_alu instid0(SALU_CYCLE_1) | instskip(NEXT) | instid1(SALU_CYCLE_1)
	s_bitset1_b32 s0, 10
	s_mov_b32 m0, s0
	s_sendmsg sendmsg(MSG_INTERRUPT)
	s_mov_b32 m0, ttmp2
.LBB4_289:                              ; =>This Inner Loop Header: Depth=1
	s_sethalt 5
	s_branch .LBB4_289
.LBB4_290:
	s_trap 2
	s_sendmsg_rtn_b32 s0, sendmsg(MSG_RTN_GET_DOORBELL)
	s_mov_b32 ttmp2, m0
	s_waitcnt lgkmcnt(0)
	s_and_b32 s0, s0, 0x3ff
	s_delay_alu instid0(SALU_CYCLE_1) | instskip(NEXT) | instid1(SALU_CYCLE_1)
	s_bitset1_b32 s0, 10
	s_mov_b32 m0, s0
	s_sendmsg sendmsg(MSG_INTERRUPT)
	s_mov_b32 m0, ttmp2
.LBB4_291:                              ; =>This Inner Loop Header: Depth=1
	s_sethalt 5
	s_branch .LBB4_291
.LBB4_292:
	s_or_b32 exec_lo, exec_lo, s4
	s_and_saveexec_b32 s4, s5
	s_delay_alu instid0(SALU_CYCLE_1)
	s_xor_b32 s4, exec_lo, s4
	s_cbranch_execz .LBB4_294
; %bb.293:
	v_mov_b32_e32 v0, 1
	ds_store_b32 v0, v0
	s_cbranch_execnz .LBB4_301
.LBB4_294:
	s_or_b32 exec_lo, exec_lo, s3
	;;#ASMSTART
	s_wakeup
	;;#ASMEND
.LBB4_295:
	s_or_b32 exec_lo, exec_lo, s2
.LBB4_296:
	s_and_not1_saveexec_b32 s1, s1
	s_cbranch_execz .LBB4_298
; %bb.297:
	s_waitcnt vmcnt(0) lgkmcnt(0)
	s_waitcnt_vscnt null, 0x0
	buffer_gl1_inv
	buffer_gl0_inv
	s_barrier
.LBB4_298:
	s_or_b32 exec_lo, exec_lo, s0
	s_waitcnt vmcnt(0) lgkmcnt(0)
	s_setpc_b64 s[30:31]
.LBB4_299:
	s_trap 2
	s_sendmsg_rtn_b32 s0, sendmsg(MSG_RTN_GET_DOORBELL)
	s_mov_b32 ttmp2, m0
	s_waitcnt lgkmcnt(0)
	s_and_b32 s0, s0, 0x3ff
	s_delay_alu instid0(SALU_CYCLE_1) | instskip(NEXT) | instid1(SALU_CYCLE_1)
	s_bitset1_b32 s0, 10
	s_mov_b32 m0, s0
	s_sendmsg sendmsg(MSG_INTERRUPT)
	s_mov_b32 m0, ttmp2
.LBB4_300:                              ; =>This Inner Loop Header: Depth=1
	s_sethalt 5
	s_branch .LBB4_300
.LBB4_301:
	s_trap 2
	s_sendmsg_rtn_b32 s0, sendmsg(MSG_RTN_GET_DOORBELL)
	s_mov_b32 ttmp2, m0
	s_waitcnt lgkmcnt(0)
	s_and_b32 s0, s0, 0x3ff
	s_delay_alu instid0(SALU_CYCLE_1) | instskip(NEXT) | instid1(SALU_CYCLE_1)
	s_bitset1_b32 s0, 10
	s_mov_b32 m0, s0
	s_sendmsg sendmsg(MSG_INTERRUPT)
	s_mov_b32 m0, ttmp2
.LBB4_302:                              ; =>This Inner Loop Header: Depth=1
	s_sethalt 5
	s_branch .LBB4_302
.LBB4_303:
	s_trap 2
	s_sendmsg_rtn_b32 s0, sendmsg(MSG_RTN_GET_DOORBELL)
	s_mov_b32 ttmp2, m0
	s_waitcnt lgkmcnt(0)
	s_and_b32 s0, s0, 0x3ff
	s_delay_alu instid0(SALU_CYCLE_1) | instskip(NEXT) | instid1(SALU_CYCLE_1)
	s_bitset1_b32 s0, 10
	s_mov_b32 m0, s0
	s_sendmsg sendmsg(MSG_INTERRUPT)
	s_mov_b32 m0, ttmp2
.LBB4_304:                              ; =>This Inner Loop Header: Depth=1
	s_sethalt 5
	s_branch .LBB4_304
.LBB4_305:
	s_trap 2
	s_sendmsg_rtn_b32 s0, sendmsg(MSG_RTN_GET_DOORBELL)
	s_mov_b32 ttmp2, m0
	s_waitcnt lgkmcnt(0)
	s_and_b32 s0, s0, 0x3ff
	s_delay_alu instid0(SALU_CYCLE_1) | instskip(NEXT) | instid1(SALU_CYCLE_1)
	s_bitset1_b32 s0, 10
	s_mov_b32 m0, s0
	s_sendmsg sendmsg(MSG_INTERRUPT)
	s_mov_b32 m0, ttmp2
.LBB4_306:                              ; =>This Inner Loop Header: Depth=1
	s_sethalt 5
	s_branch .LBB4_306
.LBB4_307:
	s_trap 2
	s_sendmsg_rtn_b32 s0, sendmsg(MSG_RTN_GET_DOORBELL)
	s_mov_b32 ttmp2, m0
	s_waitcnt lgkmcnt(0)
	s_and_b32 s0, s0, 0x3ff
	s_delay_alu instid0(SALU_CYCLE_1) | instskip(NEXT) | instid1(SALU_CYCLE_1)
	s_bitset1_b32 s0, 10
	s_mov_b32 m0, s0
	s_sendmsg sendmsg(MSG_INTERRUPT)
	s_mov_b32 m0, ttmp2
.LBB4_308:                              ; =>This Inner Loop Header: Depth=1
	s_sethalt 5
	s_branch .LBB4_308
.Lfunc_end4:
	.size	_ZN12_GLOBAL__N_17runRingIm10FuncMinMaxImE7ProtoLLLi0ELi4ELi0EEEviiP15ncclDevWorkColl, .Lfunc_end4-_ZN12_GLOBAL__N_17runRingIm10FuncMinMaxImE7ProtoLLLi0ELi4ELi0EEEviiP15ncclDevWorkColl
                                        ; -- End function
	.section	.AMDGPU.csdata,"",@progbits
; Function info:
; codeLenInByte = 9332
; NumSgprs: 34
; NumVgprs: 167
; ScratchSize: 0
; MemoryBound: 0
	.text
	.p2align	2                               ; -- Begin function _Z50ncclDevFunc_ReduceScatter_RING_LL_MinMax_u64_0_0_4v
	.type	_Z50ncclDevFunc_ReduceScatter_RING_LL_MinMax_u64_0_0_4v,@function
_Z50ncclDevFunc_ReduceScatter_RING_LL_MinMax_u64_0_0_4v: ; @_Z50ncclDevFunc_ReduceScatter_RING_LL_MinMax_u64_0_0_4v
; %bb.0:
	s_waitcnt vmcnt(0) expcnt(0) lgkmcnt(0)
	s_mov_b32 s0, s33
	s_mov_b32 s33, s32
	s_or_saveexec_b32 s1, -1
	scratch_store_b32 off, v40, s33         ; 4-byte Folded Spill
	s_mov_b32 exec_lo, s1
	v_writelane_b32 v40, s0, 4
	s_add_i32 s32, s32, 16
	v_writelane_b32 v40, s34, 0
	v_writelane_b32 v40, s35, 1
	;; [unrolled: 1-line block ×4, first 2 shown]
	s_cbranch_execnz .LBB5_7
; %bb.1:
	ds_load_b32 v0, v0
	v_and_b32_e32 v167, 0x3ff, v31
	s_mov_b32 s0, exec_lo
	s_waitcnt lgkmcnt(0)
	s_delay_alu instid0(VALU_DEP_1)
	v_cmpx_lt_i32_e64 v167, v0
	s_cbranch_execz .LBB5_9
; %bb.2:
	s_load_b32 s1, s[8:9], 0x0
	v_mov_b32_e32 v1, 0
	s_waitcnt lgkmcnt(0)
	s_cmp_lt_u32 s12, s1
	s_cselect_b32 s1, 12, 18
	s_delay_alu instid0(SALU_CYCLE_1)
	s_add_u32 s2, s8, s1
	s_addc_u32 s3, s9, 0
	s_mov_b32 s1, 0
	global_load_u16 v1, v1, s[2:3]
	s_cbranch_execnz .LBB5_24
; %bb.3:
	ds_load_b32 v2, v0
	v_mov_b32_e32 v3, v167
                                        ; implicit-def: $vgpr4
	s_waitcnt vmcnt(0) lgkmcnt(0)
	v_mul_lo_u32 v2, v2, v1
	s_branch .LBB5_5
	.p2align	6
.LBB5_4:                                ;   in Loop: Header=BB5_5 Depth=1
	s_or_b32 exec_lo, exec_lo, s2
	v_add_nc_u32_e32 v3, v3, v1
	v_add_nc_u32_e32 v4, v4, v2
	s_delay_alu instid0(VALU_DEP_2) | instskip(SKIP_1) | instid1(SALU_CYCLE_1)
	v_cmp_ge_i32_e32 vcc_lo, v3, v0
	s_or_b32 s1, vcc_lo, s1
	s_and_not1_b32 exec_lo, exec_lo, s1
	s_cbranch_execz .LBB5_9
.LBB5_5:                                ; =>This Inner Loop Header: Depth=1
	ds_load_b32 v5, v4
	s_mov_b32 s2, exec_lo
	s_waitcnt lgkmcnt(0)
	v_and_b32_e32 v5, 0x1000000, v5
	s_delay_alu instid0(VALU_DEP_1)
	v_cmpx_ne_u32_e32 0, v5
	s_cbranch_execz .LBB5_4
; %bb.6:                                ;   in Loop: Header=BB5_5 Depth=1
	ds_load_b64 v[5:6], v4 offset:104
	s_waitcnt lgkmcnt(0)
	flat_load_b64 v[5:6], v[5:6]
	s_waitcnt vmcnt(0) lgkmcnt(0)
	ds_store_b64 v4, v[5:6] offset:104
	s_branch .LBB5_4
.LBB5_7:
	s_trap 2
	s_sendmsg_rtn_b32 s0, sendmsg(MSG_RTN_GET_DOORBELL)
	s_mov_b32 ttmp2, m0
	s_waitcnt lgkmcnt(0)
	s_and_b32 s0, s0, 0x3ff
	s_delay_alu instid0(SALU_CYCLE_1) | instskip(NEXT) | instid1(SALU_CYCLE_1)
	s_bitset1_b32 s0, 10
	s_mov_b32 m0, s0
	s_sendmsg sendmsg(MSG_INTERRUPT)
	s_mov_b32 m0, ttmp2
.LBB5_8:                                ; =>This Inner Loop Header: Depth=1
	s_sethalt 5
	s_branch .LBB5_8
.LBB5_9:
	s_or_b32 exec_lo, exec_lo, s0
	s_waitcnt lgkmcnt(0)
	s_waitcnt_vscnt null, 0x0
	s_barrier
	buffer_gl0_inv
	s_cbranch_execnz .LBB5_22
; %bb.10:
	ds_load_b32 v0, v0
	s_waitcnt lgkmcnt(0)
	v_cmp_gt_i32_e32 vcc_lo, 1, v0
	s_cbranch_vccnz .LBB5_21
; %bb.11:
	s_mov_b32 s34, 0
	s_mov_b64 s[28:29], src_shared_base
.LBB5_12:                               ; =>This Inner Loop Header: Depth=1
	s_cbranch_execnz .LBB5_26
; %bb.13:                               ;   in Loop: Header=BB5_12 Depth=1
	ds_load_b32 v0, v0
	s_cmp_eq_u32 s34, 0
	s_cbranch_scc1 .LBB5_17
; %bb.14:                               ;   in Loop: Header=BB5_12 Depth=1
	s_cbranch_execnz .LBB5_30
; %bb.15:                               ;   in Loop: Header=BB5_12 Depth=1
	s_waitcnt lgkmcnt(0)
	ds_load_b32 v1, v0
	s_waitcnt lgkmcnt(0)
	v_xor_b32_e32 v1, v1, v0
	s_delay_alu instid0(VALU_DEP_1) | instskip(NEXT) | instid1(VALU_DEP_1)
	v_and_b32_e32 v1, 0xff0000, v1
	v_cmp_eq_u32_e32 vcc_lo, 0, v1
	s_cbranch_vccnz .LBB5_17
; %bb.16:                               ;   in Loop: Header=BB5_12 Depth=1
	s_waitcnt_vscnt null, 0x0
	s_barrier
	buffer_gl0_inv
	ds_load_b32 v0, v0
.LBB5_17:                               ;   in Loop: Header=BB5_12 Depth=1
	s_waitcnt lgkmcnt(0)
	v_lshrrev_b32_e32 v0, 11, v0
	s_mov_b32 s35, exec_lo
	s_delay_alu instid0(VALU_DEP_1) | instskip(NEXT) | instid1(VALU_DEP_1)
	v_and_b32_e32 v1, 0x1fe0, v0
	v_cmpx_lt_u32_e64 v167, v1
	s_cbranch_execz .LBB5_19
; %bb.18:                               ;   in Loop: Header=BB5_12 Depth=1
	v_dual_mov_b32 v0, v167 :: v_dual_mov_b32 v3, s29
	s_getpc_b64 s[0:1]
	s_add_u32 s0, s0, _ZN12_GLOBAL__N_17runRingIm10FuncMinMaxImE7ProtoLLLi0ELi4ELi0EEEviiP15ncclDevWorkColl@rel32@lo+4
	s_addc_u32 s1, s1, _ZN12_GLOBAL__N_17runRingIm10FuncMinMaxImE7ProtoLLLi0ELi4ELi0EEEviiP15ncclDevWorkColl@rel32@hi+12
	s_mov_b64 s[26:27], s[8:9]
	s_mov_b32 s28, s12
	s_swappc_b64 s[30:31], s[0:1]
	s_mov_b32 s12, s28
	s_mov_b64 s[8:9], s[26:27]
.LBB5_19:                               ;   in Loop: Header=BB5_12 Depth=1
	s_or_b32 exec_lo, exec_lo, s35
	s_cbranch_execnz .LBB5_28
; %bb.20:                               ;   in Loop: Header=BB5_12 Depth=1
	ds_load_b32 v0, v0
	s_add_i32 s34, s34, 1
	s_waitcnt lgkmcnt(0)
	v_cmp_lt_i32_e32 vcc_lo, s34, v0
	s_cbranch_vccnz .LBB5_12
.LBB5_21:
	v_readlane_b32 s30, v40, 2
	v_readlane_b32 s31, v40, 3
	v_readlane_b32 s35, v40, 1
	v_readlane_b32 s34, v40, 0
	v_readlane_b32 s0, v40, 4
	s_or_saveexec_b32 s1, -1
	scratch_load_b32 v40, off, s33          ; 4-byte Folded Reload
	s_mov_b32 exec_lo, s1
	s_add_i32 s32, s32, -16
	s_mov_b32 s33, s0
	s_waitcnt vmcnt(0)
	s_setpc_b64 s[30:31]
.LBB5_22:
	s_trap 2
	s_sendmsg_rtn_b32 s0, sendmsg(MSG_RTN_GET_DOORBELL)
	s_mov_b32 ttmp2, m0
	s_waitcnt lgkmcnt(0)
	s_and_b32 s0, s0, 0x3ff
	s_delay_alu instid0(SALU_CYCLE_1) | instskip(NEXT) | instid1(SALU_CYCLE_1)
	s_bitset1_b32 s0, 10
	s_mov_b32 m0, s0
	s_sendmsg sendmsg(MSG_INTERRUPT)
	s_mov_b32 m0, ttmp2
.LBB5_23:                               ; =>This Inner Loop Header: Depth=1
	s_sethalt 5
	s_branch .LBB5_23
.LBB5_24:
	s_trap 2
	s_sendmsg_rtn_b32 s0, sendmsg(MSG_RTN_GET_DOORBELL)
	s_mov_b32 ttmp2, m0
	s_waitcnt lgkmcnt(0)
	s_and_b32 s0, s0, 0x3ff
	s_delay_alu instid0(SALU_CYCLE_1) | instskip(NEXT) | instid1(SALU_CYCLE_1)
	s_bitset1_b32 s0, 10
	s_mov_b32 m0, s0
	s_sendmsg sendmsg(MSG_INTERRUPT)
	s_mov_b32 m0, ttmp2
.LBB5_25:                               ; =>This Inner Loop Header: Depth=1
	s_sethalt 5
	s_branch .LBB5_25
.LBB5_26:
	s_trap 2
	s_sendmsg_rtn_b32 s0, sendmsg(MSG_RTN_GET_DOORBELL)
	s_mov_b32 ttmp2, m0
	s_waitcnt lgkmcnt(0)
	s_and_b32 s0, s0, 0x3ff
	s_delay_alu instid0(SALU_CYCLE_1) | instskip(NEXT) | instid1(SALU_CYCLE_1)
	s_bitset1_b32 s0, 10
	s_mov_b32 m0, s0
	s_sendmsg sendmsg(MSG_INTERRUPT)
	s_mov_b32 m0, ttmp2
.LBB5_27:                               ; =>This Inner Loop Header: Depth=1
	s_sethalt 5
	s_branch .LBB5_27
.LBB5_28:
	s_trap 2
	s_sendmsg_rtn_b32 s0, sendmsg(MSG_RTN_GET_DOORBELL)
	s_mov_b32 ttmp2, m0
	s_waitcnt lgkmcnt(0)
	s_and_b32 s0, s0, 0x3ff
	s_delay_alu instid0(SALU_CYCLE_1) | instskip(NEXT) | instid1(SALU_CYCLE_1)
	s_bitset1_b32 s0, 10
	s_mov_b32 m0, s0
	s_sendmsg sendmsg(MSG_INTERRUPT)
	s_mov_b32 m0, ttmp2
.LBB5_29:                               ; =>This Inner Loop Header: Depth=1
	s_sethalt 5
	s_branch .LBB5_29
.LBB5_30:
	s_trap 2
	s_sendmsg_rtn_b32 s0, sendmsg(MSG_RTN_GET_DOORBELL)
	s_mov_b32 ttmp2, m0
	s_waitcnt lgkmcnt(0)
	s_and_b32 s0, s0, 0x3ff
	s_delay_alu instid0(SALU_CYCLE_1) | instskip(NEXT) | instid1(SALU_CYCLE_1)
	s_bitset1_b32 s0, 10
	s_mov_b32 m0, s0
	s_sendmsg sendmsg(MSG_INTERRUPT)
	s_mov_b32 m0, ttmp2
.LBB5_31:                               ; =>This Inner Loop Header: Depth=1
	s_sethalt 5
	s_branch .LBB5_31
.Lfunc_end5:
	.size	_Z50ncclDevFunc_ReduceScatter_RING_LL_MinMax_u64_0_0_4v, .Lfunc_end5-_Z50ncclDevFunc_ReduceScatter_RING_LL_MinMax_u64_0_0_4v
                                        ; -- End function
	.section	.AMDGPU.csdata,"",@progbits
; Function info:
; codeLenInByte = 944
; NumSgprs: 38
; NumVgprs: 168
; ScratchSize: 16
; MemoryBound: 0
	.text
	.p2alignl 7, 3214868480
	.fill 96, 4, 3214868480
	.type	__hip_cuid_932bdd02e941938d,@object ; @__hip_cuid_932bdd02e941938d
	.section	.bss,"aw",@nobits
	.globl	__hip_cuid_932bdd02e941938d
__hip_cuid_932bdd02e941938d:
	.byte	0                               ; 0x0
	.size	__hip_cuid_932bdd02e941938d, 1

	.ident	"AMD clang version 19.0.0git (https://github.com/RadeonOpenCompute/llvm-project roc-6.4.0 25133 c7fe45cf4b819c5991fe208aaa96edf142730f1d)"
	.section	".note.GNU-stack","",@progbits
	.addrsig
	.addrsig_sym _Z50ncclDevFunc_ReduceScatter_RING_LL_MinMax_u64_0_0_1v
	.addrsig_sym _Z50ncclDevFunc_ReduceScatter_RING_LL_MinMax_u64_0_0_2v
	.addrsig_sym _Z50ncclDevFunc_ReduceScatter_RING_LL_MinMax_u64_0_0_4v
	.addrsig_sym ncclShmem
	.addrsig_sym __hip_cuid_932bdd02e941938d
	.amdgpu_metadata
---
amdhsa.kernels:  []
amdhsa.target:   amdgcn-amd-amdhsa--gfx1100
amdhsa.version:
  - 1
  - 2
...

	.end_amdgpu_metadata
